;; amdgpu-corpus repo=ROCm/rocSPARSE kind=compiled arch=gfx1100 opt=O3
	.text
	.amdgcn_target "amdgcn-amd-amdhsa--gfx1100"
	.amdhsa_code_object_version 6
	.section	.text._ZN9rocsparseL20kernel_calculate_cooILi1024ELi32ELb1EfiiEEvT4_T3_PKS1_S4_PKT2_21rocsparse_index_base_PKS2_SA_S4_SA_SA_S4_SA_PS5_PNS_15floating_traitsIS5_E6data_tEPKSE_,"axG",@progbits,_ZN9rocsparseL20kernel_calculate_cooILi1024ELi32ELb1EfiiEEvT4_T3_PKS1_S4_PKT2_21rocsparse_index_base_PKS2_SA_S4_SA_SA_S4_SA_PS5_PNS_15floating_traitsIS5_E6data_tEPKSE_,comdat
	.globl	_ZN9rocsparseL20kernel_calculate_cooILi1024ELi32ELb1EfiiEEvT4_T3_PKS1_S4_PKT2_21rocsparse_index_base_PKS2_SA_S4_SA_SA_S4_SA_PS5_PNS_15floating_traitsIS5_E6data_tEPKSE_ ; -- Begin function _ZN9rocsparseL20kernel_calculate_cooILi1024ELi32ELb1EfiiEEvT4_T3_PKS1_S4_PKT2_21rocsparse_index_base_PKS2_SA_S4_SA_SA_S4_SA_PS5_PNS_15floating_traitsIS5_E6data_tEPKSE_
	.p2align	8
	.type	_ZN9rocsparseL20kernel_calculate_cooILi1024ELi32ELb1EfiiEEvT4_T3_PKS1_S4_PKT2_21rocsparse_index_base_PKS2_SA_S4_SA_SA_S4_SA_PS5_PNS_15floating_traitsIS5_E6data_tEPKSE_,@function
_ZN9rocsparseL20kernel_calculate_cooILi1024ELi32ELb1EfiiEEvT4_T3_PKS1_S4_PKT2_21rocsparse_index_base_PKS2_SA_S4_SA_SA_S4_SA_PS5_PNS_15floating_traitsIS5_E6data_tEPKSE_: ; @_ZN9rocsparseL20kernel_calculate_cooILi1024ELi32ELb1EfiiEEvT4_T3_PKS1_S4_PKT2_21rocsparse_index_base_PKS2_SA_S4_SA_SA_S4_SA_PS5_PNS_15floating_traitsIS5_E6data_tEPKSE_
; %bb.0:
	s_load_b32 s3, s[0:1], 0x4
	v_lshl_or_b32 v1, s15, 16, v0
	v_mov_b32_e32 v12, 0
	s_mov_b32 s26, exec_lo
	s_waitcnt lgkmcnt(0)
	s_delay_alu instid0(VALU_DEP_2)
	v_cmpx_gt_i32_e64 s3, v1
	s_cbranch_execz .LBB0_29
; %bb.1:
	s_clause 0x4
	s_load_b256 s[4:11], s[0:1], 0x48
	s_load_b128 s[20:23], s[0:1], 0x8
	s_load_b64 s[24:25], s[0:1], 0x18
	s_load_b256 s[12:19], s[0:1], 0x28
	s_load_b32 s27, s[0:1], 0x20
	v_mov_b32_e32 v12, 0
	s_mov_b32 s28, 0
	s_branch .LBB0_4
.LBB0_2:                                ;   in Loop: Header=BB0_4 Depth=1
	s_or_b32 exec_lo, exec_lo, s31
	s_or_b32 s2, s2, s30
	s_delay_alu instid0(SALU_CYCLE_1)
	v_cndmask_b32_e64 v12, |v4|, v12, s2
.LBB0_3:                                ;   in Loop: Header=BB0_4 Depth=1
	s_or_b32 exec_lo, exec_lo, s29
	v_add_nc_u32_e32 v1, 0x400, v1
	s_add_i32 s28, s28, 1
	s_delay_alu instid0(SALU_CYCLE_1)
	s_cmp_lg_u32 s28, 64
	s_cbranch_scc0 .LBB0_29
.LBB0_4:                                ; =>This Loop Header: Depth=1
                                        ;     Child Loop BB0_8 Depth 2
                                        ;     Child Loop BB0_14 Depth 2
	;; [unrolled: 1-line block ×3, first 2 shown]
	s_mov_b32 s29, exec_lo
	v_cmpx_gt_i32_e64 s3, v1
	s_cbranch_execz .LBB0_3
; %bb.5:                                ;   in Loop: Header=BB0_4 Depth=1
	v_ashrrev_i32_e32 v2, 31, v1
	s_delay_alu instid0(VALU_DEP_1) | instskip(SKIP_1) | instid1(VALU_DEP_1)
	v_lshlrev_b64 v[2:3], 2, v[1:2]
	s_waitcnt lgkmcnt(0)
	v_add_co_u32 v4, vcc_lo, s22, v2
	s_delay_alu instid0(VALU_DEP_2)
	v_add_co_ci_u32_e32 v5, vcc_lo, s23, v3, vcc_lo
	global_load_b32 v13, v[4:5], off
	v_add_co_u32 v4, vcc_lo, s20, v2
	v_add_co_ci_u32_e32 v5, vcc_lo, s21, v3, vcc_lo
	global_load_b32 v14, v[4:5], off
	s_waitcnt vmcnt(1)
	v_subrev_nc_u32_e32 v4, s27, v13
	s_delay_alu instid0(VALU_DEP_1) | instskip(NEXT) | instid1(VALU_DEP_1)
	v_ashrrev_i32_e32 v5, 31, v4
	v_lshlrev_b64 v[4:5], 2, v[4:5]
	s_delay_alu instid0(VALU_DEP_1) | instskip(NEXT) | instid1(VALU_DEP_2)
	v_add_co_u32 v6, vcc_lo, s14, v4
	v_add_co_ci_u32_e32 v7, vcc_lo, s15, v5, vcc_lo
	global_load_b32 v10, v[6:7], off
	s_waitcnt vmcnt(1)
	v_subrev_nc_u32_e32 v6, s27, v14
	s_delay_alu instid0(VALU_DEP_1) | instskip(NEXT) | instid1(VALU_DEP_1)
	v_ashrrev_i32_e32 v7, 31, v6
	v_lshlrev_b64 v[6:7], 2, v[6:7]
	s_delay_alu instid0(VALU_DEP_1) | instskip(NEXT) | instid1(VALU_DEP_2)
	v_add_co_u32 v8, vcc_lo, s14, v6
	v_add_co_ci_u32_e32 v9, vcc_lo, s15, v7, vcc_lo
	global_load_b32 v17, v[8:9], off
	v_add_co_u32 v8, vcc_lo, s4, v4
	v_add_co_ci_u32_e32 v9, vcc_lo, s5, v5, vcc_lo
	v_add_co_u32 v6, vcc_lo, s12, v6
	v_add_co_ci_u32_e32 v7, vcc_lo, s13, v7, vcc_lo
	;; [unrolled: 2-line block ×4, first 2 shown]
	global_load_b32 v8, v[8:9], off
	global_load_b32 v6, v[6:7], off
	;; [unrolled: 1-line block ×3, first 2 shown]
	s_waitcnt vmcnt(4)
	v_subrev_nc_u32_e32 v10, s27, v10
	s_delay_alu instid0(VALU_DEP_1) | instskip(NEXT) | instid1(VALU_DEP_1)
	v_ashrrev_i32_e32 v11, 31, v10
	v_lshlrev_b64 v[10:11], 2, v[10:11]
	s_delay_alu instid0(VALU_DEP_1) | instskip(NEXT) | instid1(VALU_DEP_2)
	v_add_co_u32 v4, vcc_lo, s10, v10
	v_add_co_ci_u32_e32 v5, vcc_lo, s11, v11, vcc_lo
	global_load_b32 v16, v[15:16], off
	global_load_b32 v15, v[4:5], off
	s_waitcnt vmcnt(5)
	v_subrev_nc_u32_e32 v18, s27, v17
	s_waitcnt vmcnt(4)
	v_subrev_nc_u32_e32 v20, s27, v8
	s_waitcnt vmcnt(3)
	v_cmp_lt_i32_e32 vcc_lo, v6, v17
	s_waitcnt vmcnt(2)
	v_cmp_lt_i32_e64 s2, v7, v8
	v_subrev_nc_u32_e32 v4, s27, v6
	v_subrev_nc_u32_e32 v6, s27, v7
	v_mov_b32_e32 v17, 0
	s_delay_alu instid0(VALU_DEP_4) | instskip(NEXT) | instid1(SALU_CYCLE_1)
	s_and_b32 s2, vcc_lo, s2
	s_and_saveexec_b32 s30, s2
	s_cbranch_execz .LBB0_11
; %bb.6:                                ;   in Loop: Header=BB0_4 Depth=1
	v_mov_b32_e32 v17, 0
	s_mov_b32 s31, 0
	s_branch .LBB0_8
.LBB0_7:                                ;   in Loop: Header=BB0_8 Depth=2
	s_or_b32 exec_lo, exec_lo, s2
	v_cmp_le_i32_e32 vcc_lo, v5, v7
	v_add_co_ci_u32_e32 v4, vcc_lo, 0, v4, vcc_lo
	v_cmp_ge_i32_e32 vcc_lo, v5, v7
	v_add_co_ci_u32_e32 v6, vcc_lo, 0, v6, vcc_lo
	s_delay_alu instid0(VALU_DEP_3) | instskip(NEXT) | instid1(VALU_DEP_2)
	v_cmp_ge_i32_e32 vcc_lo, v4, v18
	v_cmp_ge_i32_e64 s2, v6, v20
	s_delay_alu instid0(VALU_DEP_1) | instskip(NEXT) | instid1(SALU_CYCLE_1)
	s_or_b32 s2, vcc_lo, s2
	s_and_b32 s2, exec_lo, s2
	s_delay_alu instid0(SALU_CYCLE_1) | instskip(NEXT) | instid1(SALU_CYCLE_1)
	s_or_b32 s31, s2, s31
	s_and_not1_b32 exec_lo, exec_lo, s31
	s_cbranch_execz .LBB0_10
.LBB0_8:                                ;   Parent Loop BB0_4 Depth=1
                                        ; =>  This Inner Loop Header: Depth=2
	v_ashrrev_i32_e32 v5, 31, v4
	v_ashrrev_i32_e32 v7, 31, v6
	s_mov_b32 s2, exec_lo
	s_delay_alu instid0(VALU_DEP_2) | instskip(NEXT) | instid1(VALU_DEP_2)
	v_lshlrev_b64 v[8:9], 2, v[4:5]
	v_lshlrev_b64 v[10:11], 2, v[6:7]
	s_delay_alu instid0(VALU_DEP_2) | instskip(NEXT) | instid1(VALU_DEP_3)
	v_add_co_u32 v21, vcc_lo, s16, v8
	v_add_co_ci_u32_e32 v22, vcc_lo, s17, v9, vcc_lo
	s_delay_alu instid0(VALU_DEP_3) | instskip(NEXT) | instid1(VALU_DEP_4)
	v_add_co_u32 v23, vcc_lo, s6, v10
	v_add_co_ci_u32_e32 v24, vcc_lo, s7, v11, vcc_lo
	global_load_b32 v5, v[21:22], off
	global_load_b32 v7, v[23:24], off
	s_waitcnt vmcnt(0)
	v_cmpx_eq_u32_e64 v5, v7
	s_cbranch_execz .LBB0_7
; %bb.9:                                ;   in Loop: Header=BB0_8 Depth=2
	v_add_co_u32 v10, vcc_lo, s8, v10
	v_add_co_ci_u32_e32 v11, vcc_lo, s9, v11, vcc_lo
	v_add_co_u32 v8, vcc_lo, s10, v8
	v_add_co_ci_u32_e32 v9, vcc_lo, s11, v9, vcc_lo
	global_load_b32 v10, v[10:11], off
	s_waitcnt vmcnt(0)
	v_ashrrev_i32_e32 v11, 31, v10
	s_delay_alu instid0(VALU_DEP_1) | instskip(NEXT) | instid1(VALU_DEP_1)
	v_lshlrev_b64 v[10:11], 2, v[10:11]
	v_add_co_u32 v10, vcc_lo, s10, v10
	s_delay_alu instid0(VALU_DEP_2)
	v_add_co_ci_u32_e32 v11, vcc_lo, s11, v11, vcc_lo
	s_clause 0x1
	global_load_b32 v8, v[8:9], off
	global_load_b32 v9, v[10:11], off
	s_waitcnt vmcnt(0)
	v_fmac_f32_e32 v17, v8, v9
	s_branch .LBB0_7
.LBB0_10:                               ;   in Loop: Header=BB0_4 Depth=1
	s_or_b32 exec_lo, exec_lo, s31
.LBB0_11:                               ;   in Loop: Header=BB0_4 Depth=1
	s_delay_alu instid0(SALU_CYCLE_1)
	s_or_b32 exec_lo, exec_lo, s30
	s_waitcnt vmcnt(1)
	v_sub_f32_e32 v19, v17, v16
	s_mov_b32 s30, exec_lo
	v_cmpx_lt_i32_e64 v6, v20
	s_cbranch_execz .LBB0_19
; %bb.12:                               ;   in Loop: Header=BB0_4 Depth=1
	v_ashrrev_i32_e32 v7, 31, v6
	s_mov_b32 s31, 0
                                        ; implicit-def: $sgpr33
                                        ; implicit-def: $sgpr35
                                        ; implicit-def: $sgpr34
	s_delay_alu instid0(VALU_DEP_1) | instskip(NEXT) | instid1(VALU_DEP_1)
	v_lshlrev_b64 v[8:9], 2, v[6:7]
	v_add_co_u32 v8, vcc_lo, s6, v8
	s_delay_alu instid0(VALU_DEP_2)
	v_add_co_ci_u32_e32 v9, vcc_lo, s7, v9, vcc_lo
	s_set_inst_prefetch_distance 0x1
	s_branch .LBB0_14
	.p2align	6
.LBB0_13:                               ;   in Loop: Header=BB0_14 Depth=2
	s_or_b32 exec_lo, exec_lo, s36
	s_delay_alu instid0(SALU_CYCLE_1) | instskip(NEXT) | instid1(SALU_CYCLE_1)
	s_and_b32 s2, exec_lo, s35
	s_or_b32 s31, s2, s31
	s_and_not1_b32 s2, s33, exec_lo
	s_and_b32 s33, s34, exec_lo
	s_delay_alu instid0(SALU_CYCLE_1)
	s_or_b32 s33, s2, s33
	s_and_not1_b32 exec_lo, exec_lo, s31
	s_cbranch_execz .LBB0_16
.LBB0_14:                               ;   Parent Loop BB0_4 Depth=1
                                        ; =>  This Inner Loop Header: Depth=2
	global_load_b32 v5, v[8:9], off
	v_dual_mov_b32 v11, v7 :: v_dual_mov_b32 v10, v6
	s_or_b32 s34, s34, exec_lo
	s_or_b32 s35, s35, exec_lo
	s_mov_b32 s36, exec_lo
                                        ; implicit-def: $vgpr6_vgpr7
	s_waitcnt vmcnt(0)
	v_cmpx_ne_u32_e64 v5, v14
	s_cbranch_execz .LBB0_13
; %bb.15:                               ;   in Loop: Header=BB0_14 Depth=2
	v_add_co_u32 v6, vcc_lo, v10, 1
	v_add_co_ci_u32_e32 v7, vcc_lo, 0, v11, vcc_lo
	v_add_co_u32 v8, s2, v8, 4
	s_delay_alu instid0(VALU_DEP_3) | instskip(SKIP_4) | instid1(SALU_CYCLE_1)
	v_cmp_ge_i32_e32 vcc_lo, v6, v20
	v_add_co_ci_u32_e64 v9, s2, 0, v9, s2
	s_and_not1_b32 s2, s35, exec_lo
	s_and_not1_b32 s34, s34, exec_lo
	s_and_b32 s35, vcc_lo, exec_lo
	s_or_b32 s35, s2, s35
	s_branch .LBB0_13
.LBB0_16:                               ;   in Loop: Header=BB0_4 Depth=1
	s_set_inst_prefetch_distance 0x2
	s_or_b32 exec_lo, exec_lo, s31
	s_and_saveexec_b32 s2, s33
	s_delay_alu instid0(SALU_CYCLE_1)
	s_xor_b32 s2, exec_lo, s2
	s_cbranch_execz .LBB0_18
; %bb.17:                               ;   in Loop: Header=BB0_4 Depth=1
	v_lshlrev_b64 v[5:6], 2, v[10:11]
	s_delay_alu instid0(VALU_DEP_1) | instskip(NEXT) | instid1(VALU_DEP_2)
	v_add_co_u32 v5, vcc_lo, s8, v5
	v_add_co_ci_u32_e32 v6, vcc_lo, s9, v6, vcc_lo
	global_load_b32 v5, v[5:6], off
	s_waitcnt vmcnt(0)
	v_ashrrev_i32_e32 v6, 31, v5
	s_delay_alu instid0(VALU_DEP_1) | instskip(NEXT) | instid1(VALU_DEP_1)
	v_lshlrev_b64 v[5:6], 2, v[5:6]
	v_add_co_u32 v5, vcc_lo, s10, v5
	s_delay_alu instid0(VALU_DEP_2)
	v_add_co_ci_u32_e32 v6, vcc_lo, s11, v6, vcc_lo
	global_load_b32 v5, v[5:6], off
	s_waitcnt vmcnt(0)
	v_add_f32_e32 v19, v19, v5
.LBB0_18:                               ;   in Loop: Header=BB0_4 Depth=1
	s_or_b32 exec_lo, exec_lo, s2
.LBB0_19:                               ;   in Loop: Header=BB0_4 Depth=1
	s_delay_alu instid0(SALU_CYCLE_1) | instskip(NEXT) | instid1(SALU_CYCLE_1)
	s_or_b32 exec_lo, exec_lo, s30
	s_mov_b32 s30, exec_lo
	v_cmpx_lt_i32_e64 v4, v18
	s_cbranch_execz .LBB0_27
; %bb.20:                               ;   in Loop: Header=BB0_4 Depth=1
	v_ashrrev_i32_e32 v5, 31, v4
	s_mov_b32 s31, 0
                                        ; implicit-def: $sgpr33
                                        ; implicit-def: $sgpr35
                                        ; implicit-def: $sgpr34
	s_delay_alu instid0(VALU_DEP_1) | instskip(NEXT) | instid1(VALU_DEP_1)
	v_lshlrev_b64 v[6:7], 2, v[4:5]
	v_add_co_u32 v6, vcc_lo, s16, v6
	s_delay_alu instid0(VALU_DEP_2)
	v_add_co_ci_u32_e32 v7, vcc_lo, s17, v7, vcc_lo
	s_set_inst_prefetch_distance 0x1
	s_branch .LBB0_22
	.p2align	6
.LBB0_21:                               ;   in Loop: Header=BB0_22 Depth=2
	s_or_b32 exec_lo, exec_lo, s36
	s_delay_alu instid0(SALU_CYCLE_1) | instskip(NEXT) | instid1(SALU_CYCLE_1)
	s_and_b32 s2, exec_lo, s35
	s_or_b32 s31, s2, s31
	s_and_not1_b32 s2, s33, exec_lo
	s_and_b32 s33, s34, exec_lo
	s_delay_alu instid0(SALU_CYCLE_1)
	s_or_b32 s33, s2, s33
	s_and_not1_b32 exec_lo, exec_lo, s31
	s_cbranch_execz .LBB0_24
.LBB0_22:                               ;   Parent Loop BB0_4 Depth=1
                                        ; =>  This Inner Loop Header: Depth=2
	global_load_b32 v10, v[6:7], off
	v_dual_mov_b32 v9, v5 :: v_dual_mov_b32 v8, v4
	s_or_b32 s34, s34, exec_lo
	s_or_b32 s35, s35, exec_lo
	s_mov_b32 s36, exec_lo
                                        ; implicit-def: $vgpr4_vgpr5
	s_waitcnt vmcnt(0)
	v_cmpx_ne_u32_e64 v10, v13
	s_cbranch_execz .LBB0_21
; %bb.23:                               ;   in Loop: Header=BB0_22 Depth=2
	v_add_co_u32 v4, vcc_lo, v8, 1
	v_add_co_ci_u32_e32 v5, vcc_lo, 0, v9, vcc_lo
	v_add_co_u32 v6, s2, v6, 4
	s_delay_alu instid0(VALU_DEP_3) | instskip(SKIP_4) | instid1(SALU_CYCLE_1)
	v_cmp_ge_i32_e32 vcc_lo, v4, v18
	v_add_co_ci_u32_e64 v7, s2, 0, v7, s2
	s_and_not1_b32 s2, s35, exec_lo
	s_and_not1_b32 s34, s34, exec_lo
	s_and_b32 s35, vcc_lo, exec_lo
	s_or_b32 s35, s2, s35
	s_branch .LBB0_21
.LBB0_24:                               ;   in Loop: Header=BB0_4 Depth=1
	s_set_inst_prefetch_distance 0x2
	s_or_b32 exec_lo, exec_lo, s31
	s_and_saveexec_b32 s2, s33
	s_delay_alu instid0(SALU_CYCLE_1)
	s_xor_b32 s2, exec_lo, s2
	s_cbranch_execz .LBB0_26
; %bb.25:                               ;   in Loop: Header=BB0_4 Depth=1
	v_lshlrev_b64 v[4:5], 2, v[8:9]
	s_delay_alu instid0(VALU_DEP_1) | instskip(NEXT) | instid1(VALU_DEP_2)
	v_add_co_u32 v4, vcc_lo, s10, v4
	v_add_co_ci_u32_e32 v5, vcc_lo, s11, v5, vcc_lo
	global_load_b32 v4, v[4:5], off
	s_waitcnt vmcnt(0)
	v_fmac_f32_e32 v19, v4, v15
.LBB0_26:                               ;   in Loop: Header=BB0_4 Depth=1
	s_or_b32 exec_lo, exec_lo, s2
.LBB0_27:                               ;   in Loop: Header=BB0_4 Depth=1
	s_delay_alu instid0(SALU_CYCLE_1) | instskip(SKIP_2) | instid1(VALU_DEP_1)
	s_or_b32 exec_lo, exec_lo, s30
	v_sub_f32_e32 v5, v16, v17
	s_waitcnt vmcnt(0)
	v_div_scale_f32 v4, null, v15, v15, v5
	s_delay_alu instid0(VALU_DEP_1) | instskip(SKIP_2) | instid1(VALU_DEP_1)
	v_rcp_f32_e32 v6, v4
	s_waitcnt_depctr 0xfff
	v_fma_f32 v7, -v4, v6, 1.0
	v_fmac_f32_e32 v6, v7, v6
	v_div_scale_f32 v7, vcc_lo, v5, v15, v5
	s_delay_alu instid0(VALU_DEP_1) | instskip(NEXT) | instid1(VALU_DEP_1)
	v_mul_f32_e32 v8, v7, v6
	v_fma_f32 v9, -v4, v8, v7
	s_delay_alu instid0(VALU_DEP_1) | instskip(NEXT) | instid1(VALU_DEP_1)
	v_fmac_f32_e32 v8, v9, v6
	v_fma_f32 v4, -v4, v8, v7
	s_delay_alu instid0(VALU_DEP_1) | instskip(SKIP_2) | instid1(VALU_DEP_3)
	v_div_fmas_f32 v4, v4, v6, v8
	v_add_f32_e32 v6, v15, v19
	v_cmp_eq_u32_e32 vcc_lo, v14, v13
	v_div_fixup_f32 v7, v4, v15, v5
	s_delay_alu instid0(VALU_DEP_3) | instskip(SKIP_1) | instid1(VALU_DEP_2)
	v_cndmask_b32_e32 v4, v19, v6, vcc_lo
	v_cmp_gt_i32_e32 vcc_lo, v14, v13
	v_cmp_nlg_f32_e64 s2, 0x7f800000, |v4|
	s_delay_alu instid0(VALU_DEP_4) | instskip(SKIP_1) | instid1(VALU_DEP_2)
	v_cndmask_b32_e32 v5, v5, v7, vcc_lo
	v_cmp_gt_f32_e64 s30, v12, |v4|
	v_cmp_class_f32_e64 s33, v5, 0x1f8
	s_delay_alu instid0(VALU_DEP_1)
	s_and_saveexec_b32 s31, s33
	s_cbranch_execz .LBB0_2
; %bb.28:                               ;   in Loop: Header=BB0_4 Depth=1
	v_add_co_u32 v2, vcc_lo, s10, v2
	v_add_co_ci_u32_e32 v3, vcc_lo, s11, v3, vcc_lo
	global_store_b32 v[2:3], v5, off
	s_branch .LBB0_2
.LBB0_29:
	s_or_b32 exec_lo, exec_lo, s26
	v_mbcnt_lo_u32_b32 v1, -1, 0
	s_mov_b32 s2, exec_lo
	s_delay_alu instid0(VALU_DEP_1) | instskip(SKIP_2) | instid1(VALU_DEP_3)
	v_xor_b32_e32 v2, 16, v1
	v_xor_b32_e32 v3, 8, v1
	;; [unrolled: 1-line block ×3, first 2 shown]
	v_cmp_gt_i32_e32 vcc_lo, 32, v2
	v_cndmask_b32_e32 v2, v1, v2, vcc_lo
	s_delay_alu instid0(VALU_DEP_4) | instskip(SKIP_1) | instid1(VALU_DEP_1)
	v_cmp_gt_i32_e32 vcc_lo, 32, v3
	v_cndmask_b32_e32 v3, v1, v3, vcc_lo
	v_lshlrev_b32_e32 v3, 2, v3
	s_delay_alu instid0(VALU_DEP_4)
	v_lshlrev_b32_e32 v2, 2, v2
	ds_bpermute_b32 v2, v2, v12
	s_waitcnt lgkmcnt(0)
	v_cmp_lt_f32_e32 vcc_lo, v12, v2
	v_cndmask_b32_e32 v2, v12, v2, vcc_lo
	v_cmp_gt_i32_e32 vcc_lo, 32, v4
	ds_bpermute_b32 v3, v3, v2
	v_cndmask_b32_e32 v4, v1, v4, vcc_lo
	s_delay_alu instid0(VALU_DEP_1)
	v_lshlrev_b32_e32 v4, 2, v4
	s_waitcnt lgkmcnt(0)
	v_cmp_lt_f32_e32 vcc_lo, v2, v3
	v_cndmask_b32_e32 v2, v2, v3, vcc_lo
	ds_bpermute_b32 v3, v4, v2
	v_xor_b32_e32 v4, 2, v1
	s_delay_alu instid0(VALU_DEP_1) | instskip(SKIP_1) | instid1(VALU_DEP_1)
	v_cmp_gt_i32_e32 vcc_lo, 32, v4
	v_cndmask_b32_e32 v4, v1, v4, vcc_lo
	v_lshlrev_b32_e32 v4, 2, v4
	s_waitcnt lgkmcnt(0)
	v_cmp_lt_f32_e32 vcc_lo, v2, v3
	v_cndmask_b32_e32 v2, v2, v3, vcc_lo
	ds_bpermute_b32 v3, v4, v2
	v_xor_b32_e32 v4, 1, v1
	s_delay_alu instid0(VALU_DEP_1)
	v_cmp_gt_i32_e32 vcc_lo, 32, v4
	v_cndmask_b32_e32 v4, v1, v4, vcc_lo
	s_waitcnt lgkmcnt(0)
	v_cmp_lt_f32_e32 vcc_lo, v2, v3
	v_cndmask_b32_e32 v1, v2, v3, vcc_lo
	v_and_b32_e32 v3, 31, v0
	v_lshlrev_b32_e32 v2, 2, v4
	ds_bpermute_b32 v2, v2, v1
	v_cmpx_eq_u32_e32 31, v3
	s_cbranch_execz .LBB0_31
; %bb.30:
	v_lshrrev_b32_e32 v3, 3, v0
	s_waitcnt lgkmcnt(0)
	v_cmp_lt_f32_e32 vcc_lo, v1, v2
	s_delay_alu instid0(VALU_DEP_2)
	v_and_b32_e32 v3, 0x7c, v3
	v_cndmask_b32_e32 v1, v1, v2, vcc_lo
	ds_store_b32 v3, v1
.LBB0_31:
	s_or_b32 exec_lo, exec_lo, s2
	v_lshlrev_b32_e32 v1, 2, v0
	s_mov_b32 s2, exec_lo
	s_waitcnt lgkmcnt(0)
	s_waitcnt_vscnt null, 0x0
	s_barrier
	buffer_gl0_inv
	v_cmpx_gt_u32_e32 16, v0
	s_cbranch_execz .LBB0_33
; %bb.32:
	ds_load_2addr_b32 v[2:3], v1 offset1:16
	s_waitcnt lgkmcnt(0)
	v_cmp_lt_f32_e32 vcc_lo, v2, v3
	v_cndmask_b32_e32 v2, v2, v3, vcc_lo
	ds_store_b32 v1, v2
.LBB0_33:
	s_or_b32 exec_lo, exec_lo, s2
	s_delay_alu instid0(SALU_CYCLE_1)
	s_mov_b32 s2, exec_lo
	s_waitcnt lgkmcnt(0)
	s_barrier
	buffer_gl0_inv
	v_cmpx_gt_u32_e32 8, v0
	s_cbranch_execz .LBB0_35
; %bb.34:
	ds_load_2addr_b32 v[2:3], v1 offset1:8
	s_waitcnt lgkmcnt(0)
	v_cmp_lt_f32_e32 vcc_lo, v2, v3
	v_cndmask_b32_e32 v2, v2, v3, vcc_lo
	ds_store_b32 v1, v2
.LBB0_35:
	s_or_b32 exec_lo, exec_lo, s2
	s_delay_alu instid0(SALU_CYCLE_1)
	s_mov_b32 s2, exec_lo
	s_waitcnt lgkmcnt(0)
	;; [unrolled: 15-line block ×3, first 2 shown]
	s_barrier
	buffer_gl0_inv
	v_cmpx_gt_u32_e32 2, v0
	s_cbranch_execz .LBB0_39
; %bb.38:
	ds_load_2addr_b32 v[2:3], v1 offset1:2
	s_waitcnt lgkmcnt(0)
	v_cmp_lt_f32_e32 vcc_lo, v2, v3
	v_cndmask_b32_e32 v2, v2, v3, vcc_lo
	ds_store_b32 v1, v2
.LBB0_39:
	s_or_b32 exec_lo, exec_lo, s2
	v_cmp_eq_u32_e32 vcc_lo, 0, v0
	s_waitcnt lgkmcnt(0)
	s_barrier
	buffer_gl0_inv
	s_and_saveexec_b32 s3, vcc_lo
	s_cbranch_execz .LBB0_41
; %bb.40:
	v_mov_b32_e32 v2, 0
	ds_load_b64 v[0:1], v2
	s_waitcnt lgkmcnt(0)
	v_cmp_lt_f32_e64 s2, v0, v1
	s_delay_alu instid0(VALU_DEP_1)
	v_cndmask_b32_e64 v0, v0, v1, s2
	ds_store_b32 v2, v0
.LBB0_41:
	s_or_b32 exec_lo, exec_lo, s3
	s_waitcnt lgkmcnt(0)
	s_barrier
	buffer_gl0_inv
	s_and_saveexec_b32 s2, vcc_lo
	s_cbranch_execz .LBB0_46
; %bb.42:
	s_load_b128 s[4:7], s[0:1], 0x68
	v_mov_b32_e32 v2, 0
	s_mov_b32 s1, 0
                                        ; implicit-def: $sgpr2
                                        ; implicit-def: $sgpr3
	ds_load_b32 v0, v2
	s_waitcnt lgkmcnt(0)
	s_load_b32 s0, s[6:7], 0x0
	s_waitcnt lgkmcnt(0)
	v_div_scale_f32 v3, null, s0, s0, v0
	v_div_scale_f32 v6, vcc_lo, v0, s0, v0
	s_delay_alu instid0(VALU_DEP_2) | instskip(SKIP_2) | instid1(VALU_DEP_1)
	v_rcp_f32_e32 v4, v3
	s_waitcnt_depctr 0xfff
	v_fma_f32 v5, -v3, v4, 1.0
	v_fmac_f32_e32 v4, v5, v4
	s_delay_alu instid0(VALU_DEP_1) | instskip(SKIP_2) | instid1(VALU_DEP_1)
	v_mul_f32_e32 v5, v6, v4
	global_load_b32 v1, v2, s[4:5] glc
	v_fma_f32 v7, -v3, v5, v6
	v_fmac_f32_e32 v5, v7, v4
	s_delay_alu instid0(VALU_DEP_1) | instskip(NEXT) | instid1(VALU_DEP_1)
	v_fma_f32 v3, -v3, v5, v6
	v_div_fmas_f32 v3, v3, v4, v5
	s_delay_alu instid0(VALU_DEP_1) | instskip(NEXT) | instid1(VALU_DEP_1)
	v_div_fixup_f32 v0, v3, s0, v0
	v_cmp_eq_f32_e32 vcc_lo, 0, v0
	s_waitcnt vmcnt(0)
	v_cmp_eq_u32_e64 s6, 0x80000000, v1
	s_set_inst_prefetch_distance 0x1
	s_branch .LBB0_44
	.p2align	6
.LBB0_43:                               ;   in Loop: Header=BB0_44 Depth=1
	s_or_b32 exec_lo, exec_lo, s7
	s_delay_alu instid0(SALU_CYCLE_1) | instskip(NEXT) | instid1(SALU_CYCLE_1)
	s_and_b32 s0, exec_lo, s2
	s_or_b32 s1, s0, s1
	s_and_not1_b32 s0, s6, exec_lo
	s_and_b32 s6, s3, exec_lo
	s_delay_alu instid0(SALU_CYCLE_1)
	s_or_b32 s6, s0, s6
	s_and_not1_b32 exec_lo, exec_lo, s1
	s_cbranch_execz .LBB0_46
.LBB0_44:                               ; =>This Inner Loop Header: Depth=1
	v_cmp_lt_f32_e64 s0, v1, v0
	s_delay_alu instid0(VALU_DEP_2) | instskip(SKIP_2) | instid1(VALU_DEP_1)
	s_and_b32 s7, vcc_lo, s6
	s_and_not1_b32 s3, s3, exec_lo
	s_or_b32 s2, s2, exec_lo
	s_or_b32 s0, s0, s7
	s_delay_alu instid0(SALU_CYCLE_1)
	s_and_saveexec_b32 s7, s0
	s_cbranch_execz .LBB0_43
; %bb.45:                               ;   in Loop: Header=BB0_44 Depth=1
	global_atomic_cmpswap_b32 v3, v2, v[0:1], s[4:5] glc
	s_and_not1_b32 s3, s3, exec_lo
	s_and_not1_b32 s2, s2, exec_lo
	s_waitcnt vmcnt(0)
	v_cmp_eq_u32_e64 s0, v3, v1
	s_delay_alu instid0(VALU_DEP_1) | instskip(SKIP_1) | instid1(SALU_CYCLE_1)
	v_cndmask_b32_e64 v1, v3, v1, s0
	s_and_b32 s0, s0, exec_lo
	s_or_b32 s2, s2, s0
	s_delay_alu instid0(VALU_DEP_1) | instskip(SKIP_1) | instid1(VALU_DEP_2)
	v_cmp_class_f32_e64 s6, v1, 32
	v_mov_b32_e32 v1, v3
	s_and_b32 s6, s6, exec_lo
	s_delay_alu instid0(SALU_CYCLE_1)
	s_or_b32 s3, s3, s6
                                        ; implicit-def: $sgpr6
	s_branch .LBB0_43
.LBB0_46:
	s_set_inst_prefetch_distance 0x2
	s_endpgm
	.section	.rodata,"a",@progbits
	.p2align	6, 0x0
	.amdhsa_kernel _ZN9rocsparseL20kernel_calculate_cooILi1024ELi32ELb1EfiiEEvT4_T3_PKS1_S4_PKT2_21rocsparse_index_base_PKS2_SA_S4_SA_SA_S4_SA_PS5_PNS_15floating_traitsIS5_E6data_tEPKSE_
		.amdhsa_group_segment_fixed_size 128
		.amdhsa_private_segment_fixed_size 0
		.amdhsa_kernarg_size 120
		.amdhsa_user_sgpr_count 15
		.amdhsa_user_sgpr_dispatch_ptr 0
		.amdhsa_user_sgpr_queue_ptr 0
		.amdhsa_user_sgpr_kernarg_segment_ptr 1
		.amdhsa_user_sgpr_dispatch_id 0
		.amdhsa_user_sgpr_private_segment_size 0
		.amdhsa_wavefront_size32 1
		.amdhsa_uses_dynamic_stack 0
		.amdhsa_enable_private_segment 0
		.amdhsa_system_sgpr_workgroup_id_x 1
		.amdhsa_system_sgpr_workgroup_id_y 0
		.amdhsa_system_sgpr_workgroup_id_z 0
		.amdhsa_system_sgpr_workgroup_info 0
		.amdhsa_system_vgpr_workitem_id 0
		.amdhsa_next_free_vgpr 25
		.amdhsa_next_free_sgpr 37
		.amdhsa_reserve_vcc 1
		.amdhsa_float_round_mode_32 0
		.amdhsa_float_round_mode_16_64 0
		.amdhsa_float_denorm_mode_32 3
		.amdhsa_float_denorm_mode_16_64 3
		.amdhsa_dx10_clamp 1
		.amdhsa_ieee_mode 1
		.amdhsa_fp16_overflow 0
		.amdhsa_workgroup_processor_mode 1
		.amdhsa_memory_ordered 1
		.amdhsa_forward_progress 0
		.amdhsa_shared_vgpr_count 0
		.amdhsa_exception_fp_ieee_invalid_op 0
		.amdhsa_exception_fp_denorm_src 0
		.amdhsa_exception_fp_ieee_div_zero 0
		.amdhsa_exception_fp_ieee_overflow 0
		.amdhsa_exception_fp_ieee_underflow 0
		.amdhsa_exception_fp_ieee_inexact 0
		.amdhsa_exception_int_div_zero 0
	.end_amdhsa_kernel
	.section	.text._ZN9rocsparseL20kernel_calculate_cooILi1024ELi32ELb1EfiiEEvT4_T3_PKS1_S4_PKT2_21rocsparse_index_base_PKS2_SA_S4_SA_SA_S4_SA_PS5_PNS_15floating_traitsIS5_E6data_tEPKSE_,"axG",@progbits,_ZN9rocsparseL20kernel_calculate_cooILi1024ELi32ELb1EfiiEEvT4_T3_PKS1_S4_PKT2_21rocsparse_index_base_PKS2_SA_S4_SA_SA_S4_SA_PS5_PNS_15floating_traitsIS5_E6data_tEPKSE_,comdat
.Lfunc_end0:
	.size	_ZN9rocsparseL20kernel_calculate_cooILi1024ELi32ELb1EfiiEEvT4_T3_PKS1_S4_PKT2_21rocsparse_index_base_PKS2_SA_S4_SA_SA_S4_SA_PS5_PNS_15floating_traitsIS5_E6data_tEPKSE_, .Lfunc_end0-_ZN9rocsparseL20kernel_calculate_cooILi1024ELi32ELb1EfiiEEvT4_T3_PKS1_S4_PKT2_21rocsparse_index_base_PKS2_SA_S4_SA_SA_S4_SA_PS5_PNS_15floating_traitsIS5_E6data_tEPKSE_
                                        ; -- End function
	.section	.AMDGPU.csdata,"",@progbits
; Kernel info:
; codeLenInByte = 2556
; NumSgprs: 39
; NumVgprs: 25
; ScratchSize: 0
; MemoryBound: 0
; FloatMode: 240
; IeeeMode: 1
; LDSByteSize: 128 bytes/workgroup (compile time only)
; SGPRBlocks: 4
; VGPRBlocks: 3
; NumSGPRsForWavesPerEU: 39
; NumVGPRsForWavesPerEU: 25
; Occupancy: 16
; WaveLimiterHint : 1
; COMPUTE_PGM_RSRC2:SCRATCH_EN: 0
; COMPUTE_PGM_RSRC2:USER_SGPR: 15
; COMPUTE_PGM_RSRC2:TRAP_HANDLER: 0
; COMPUTE_PGM_RSRC2:TGID_X_EN: 1
; COMPUTE_PGM_RSRC2:TGID_Y_EN: 0
; COMPUTE_PGM_RSRC2:TGID_Z_EN: 0
; COMPUTE_PGM_RSRC2:TIDIG_COMP_CNT: 0
	.section	.text._ZN9rocsparseL20kernel_calculate_cooILi1024ELi64ELb1EfiiEEvT4_T3_PKS1_S4_PKT2_21rocsparse_index_base_PKS2_SA_S4_SA_SA_S4_SA_PS5_PNS_15floating_traitsIS5_E6data_tEPKSE_,"axG",@progbits,_ZN9rocsparseL20kernel_calculate_cooILi1024ELi64ELb1EfiiEEvT4_T3_PKS1_S4_PKT2_21rocsparse_index_base_PKS2_SA_S4_SA_SA_S4_SA_PS5_PNS_15floating_traitsIS5_E6data_tEPKSE_,comdat
	.globl	_ZN9rocsparseL20kernel_calculate_cooILi1024ELi64ELb1EfiiEEvT4_T3_PKS1_S4_PKT2_21rocsparse_index_base_PKS2_SA_S4_SA_SA_S4_SA_PS5_PNS_15floating_traitsIS5_E6data_tEPKSE_ ; -- Begin function _ZN9rocsparseL20kernel_calculate_cooILi1024ELi64ELb1EfiiEEvT4_T3_PKS1_S4_PKT2_21rocsparse_index_base_PKS2_SA_S4_SA_SA_S4_SA_PS5_PNS_15floating_traitsIS5_E6data_tEPKSE_
	.p2align	8
	.type	_ZN9rocsparseL20kernel_calculate_cooILi1024ELi64ELb1EfiiEEvT4_T3_PKS1_S4_PKT2_21rocsparse_index_base_PKS2_SA_S4_SA_SA_S4_SA_PS5_PNS_15floating_traitsIS5_E6data_tEPKSE_,@function
_ZN9rocsparseL20kernel_calculate_cooILi1024ELi64ELb1EfiiEEvT4_T3_PKS1_S4_PKT2_21rocsparse_index_base_PKS2_SA_S4_SA_SA_S4_SA_PS5_PNS_15floating_traitsIS5_E6data_tEPKSE_: ; @_ZN9rocsparseL20kernel_calculate_cooILi1024ELi64ELb1EfiiEEvT4_T3_PKS1_S4_PKT2_21rocsparse_index_base_PKS2_SA_S4_SA_SA_S4_SA_PS5_PNS_15floating_traitsIS5_E6data_tEPKSE_
; %bb.0:
	s_load_b32 s3, s[0:1], 0x4
	v_lshl_or_b32 v1, s15, 16, v0
	v_mov_b32_e32 v12, 0
	s_mov_b32 s26, exec_lo
	s_waitcnt lgkmcnt(0)
	s_delay_alu instid0(VALU_DEP_2)
	v_cmpx_gt_i32_e64 s3, v1
	s_cbranch_execz .LBB1_29
; %bb.1:
	s_clause 0x4
	s_load_b256 s[4:11], s[0:1], 0x48
	s_load_b128 s[20:23], s[0:1], 0x8
	s_load_b64 s[24:25], s[0:1], 0x18
	s_load_b256 s[12:19], s[0:1], 0x28
	s_load_b32 s27, s[0:1], 0x20
	v_mov_b32_e32 v12, 0
	s_mov_b32 s28, 0
	s_branch .LBB1_4
.LBB1_2:                                ;   in Loop: Header=BB1_4 Depth=1
	s_or_b32 exec_lo, exec_lo, s31
	s_or_b32 s2, s2, s30
	s_delay_alu instid0(SALU_CYCLE_1)
	v_cndmask_b32_e64 v12, |v4|, v12, s2
.LBB1_3:                                ;   in Loop: Header=BB1_4 Depth=1
	s_or_b32 exec_lo, exec_lo, s29
	v_add_nc_u32_e32 v1, 0x400, v1
	s_add_i32 s28, s28, 1
	s_delay_alu instid0(SALU_CYCLE_1)
	s_cmp_lg_u32 s28, 64
	s_cbranch_scc0 .LBB1_29
.LBB1_4:                                ; =>This Loop Header: Depth=1
                                        ;     Child Loop BB1_8 Depth 2
                                        ;     Child Loop BB1_14 Depth 2
	;; [unrolled: 1-line block ×3, first 2 shown]
	s_mov_b32 s29, exec_lo
	v_cmpx_gt_i32_e64 s3, v1
	s_cbranch_execz .LBB1_3
; %bb.5:                                ;   in Loop: Header=BB1_4 Depth=1
	v_ashrrev_i32_e32 v2, 31, v1
	s_delay_alu instid0(VALU_DEP_1) | instskip(SKIP_1) | instid1(VALU_DEP_1)
	v_lshlrev_b64 v[2:3], 2, v[1:2]
	s_waitcnt lgkmcnt(0)
	v_add_co_u32 v4, vcc_lo, s22, v2
	s_delay_alu instid0(VALU_DEP_2)
	v_add_co_ci_u32_e32 v5, vcc_lo, s23, v3, vcc_lo
	global_load_b32 v13, v[4:5], off
	v_add_co_u32 v4, vcc_lo, s20, v2
	v_add_co_ci_u32_e32 v5, vcc_lo, s21, v3, vcc_lo
	global_load_b32 v14, v[4:5], off
	s_waitcnt vmcnt(1)
	v_subrev_nc_u32_e32 v4, s27, v13
	s_delay_alu instid0(VALU_DEP_1) | instskip(NEXT) | instid1(VALU_DEP_1)
	v_ashrrev_i32_e32 v5, 31, v4
	v_lshlrev_b64 v[4:5], 2, v[4:5]
	s_delay_alu instid0(VALU_DEP_1) | instskip(NEXT) | instid1(VALU_DEP_2)
	v_add_co_u32 v6, vcc_lo, s14, v4
	v_add_co_ci_u32_e32 v7, vcc_lo, s15, v5, vcc_lo
	global_load_b32 v10, v[6:7], off
	s_waitcnt vmcnt(1)
	v_subrev_nc_u32_e32 v6, s27, v14
	s_delay_alu instid0(VALU_DEP_1) | instskip(NEXT) | instid1(VALU_DEP_1)
	v_ashrrev_i32_e32 v7, 31, v6
	v_lshlrev_b64 v[6:7], 2, v[6:7]
	s_delay_alu instid0(VALU_DEP_1) | instskip(NEXT) | instid1(VALU_DEP_2)
	v_add_co_u32 v8, vcc_lo, s14, v6
	v_add_co_ci_u32_e32 v9, vcc_lo, s15, v7, vcc_lo
	global_load_b32 v17, v[8:9], off
	v_add_co_u32 v8, vcc_lo, s4, v4
	v_add_co_ci_u32_e32 v9, vcc_lo, s5, v5, vcc_lo
	v_add_co_u32 v6, vcc_lo, s12, v6
	v_add_co_ci_u32_e32 v7, vcc_lo, s13, v7, vcc_lo
	;; [unrolled: 2-line block ×4, first 2 shown]
	global_load_b32 v8, v[8:9], off
	global_load_b32 v6, v[6:7], off
	;; [unrolled: 1-line block ×3, first 2 shown]
	s_waitcnt vmcnt(4)
	v_subrev_nc_u32_e32 v10, s27, v10
	s_delay_alu instid0(VALU_DEP_1) | instskip(NEXT) | instid1(VALU_DEP_1)
	v_ashrrev_i32_e32 v11, 31, v10
	v_lshlrev_b64 v[10:11], 2, v[10:11]
	s_delay_alu instid0(VALU_DEP_1) | instskip(NEXT) | instid1(VALU_DEP_2)
	v_add_co_u32 v4, vcc_lo, s10, v10
	v_add_co_ci_u32_e32 v5, vcc_lo, s11, v11, vcc_lo
	global_load_b32 v16, v[15:16], off
	global_load_b32 v15, v[4:5], off
	s_waitcnt vmcnt(5)
	v_subrev_nc_u32_e32 v18, s27, v17
	s_waitcnt vmcnt(4)
	v_subrev_nc_u32_e32 v20, s27, v8
	s_waitcnt vmcnt(3)
	v_cmp_lt_i32_e32 vcc_lo, v6, v17
	s_waitcnt vmcnt(2)
	v_cmp_lt_i32_e64 s2, v7, v8
	v_subrev_nc_u32_e32 v4, s27, v6
	v_subrev_nc_u32_e32 v6, s27, v7
	v_mov_b32_e32 v17, 0
	s_delay_alu instid0(VALU_DEP_4) | instskip(NEXT) | instid1(SALU_CYCLE_1)
	s_and_b32 s2, vcc_lo, s2
	s_and_saveexec_b32 s30, s2
	s_cbranch_execz .LBB1_11
; %bb.6:                                ;   in Loop: Header=BB1_4 Depth=1
	v_mov_b32_e32 v17, 0
	s_mov_b32 s31, 0
	s_branch .LBB1_8
.LBB1_7:                                ;   in Loop: Header=BB1_8 Depth=2
	s_or_b32 exec_lo, exec_lo, s2
	v_cmp_le_i32_e32 vcc_lo, v5, v7
	v_add_co_ci_u32_e32 v4, vcc_lo, 0, v4, vcc_lo
	v_cmp_ge_i32_e32 vcc_lo, v5, v7
	v_add_co_ci_u32_e32 v6, vcc_lo, 0, v6, vcc_lo
	s_delay_alu instid0(VALU_DEP_3) | instskip(NEXT) | instid1(VALU_DEP_2)
	v_cmp_ge_i32_e32 vcc_lo, v4, v18
	v_cmp_ge_i32_e64 s2, v6, v20
	s_delay_alu instid0(VALU_DEP_1) | instskip(NEXT) | instid1(SALU_CYCLE_1)
	s_or_b32 s2, vcc_lo, s2
	s_and_b32 s2, exec_lo, s2
	s_delay_alu instid0(SALU_CYCLE_1) | instskip(NEXT) | instid1(SALU_CYCLE_1)
	s_or_b32 s31, s2, s31
	s_and_not1_b32 exec_lo, exec_lo, s31
	s_cbranch_execz .LBB1_10
.LBB1_8:                                ;   Parent Loop BB1_4 Depth=1
                                        ; =>  This Inner Loop Header: Depth=2
	v_ashrrev_i32_e32 v5, 31, v4
	v_ashrrev_i32_e32 v7, 31, v6
	s_mov_b32 s2, exec_lo
	s_delay_alu instid0(VALU_DEP_2) | instskip(NEXT) | instid1(VALU_DEP_2)
	v_lshlrev_b64 v[8:9], 2, v[4:5]
	v_lshlrev_b64 v[10:11], 2, v[6:7]
	s_delay_alu instid0(VALU_DEP_2) | instskip(NEXT) | instid1(VALU_DEP_3)
	v_add_co_u32 v21, vcc_lo, s16, v8
	v_add_co_ci_u32_e32 v22, vcc_lo, s17, v9, vcc_lo
	s_delay_alu instid0(VALU_DEP_3) | instskip(NEXT) | instid1(VALU_DEP_4)
	v_add_co_u32 v23, vcc_lo, s6, v10
	v_add_co_ci_u32_e32 v24, vcc_lo, s7, v11, vcc_lo
	global_load_b32 v5, v[21:22], off
	global_load_b32 v7, v[23:24], off
	s_waitcnt vmcnt(0)
	v_cmpx_eq_u32_e64 v5, v7
	s_cbranch_execz .LBB1_7
; %bb.9:                                ;   in Loop: Header=BB1_8 Depth=2
	v_add_co_u32 v10, vcc_lo, s8, v10
	v_add_co_ci_u32_e32 v11, vcc_lo, s9, v11, vcc_lo
	v_add_co_u32 v8, vcc_lo, s10, v8
	v_add_co_ci_u32_e32 v9, vcc_lo, s11, v9, vcc_lo
	global_load_b32 v10, v[10:11], off
	s_waitcnt vmcnt(0)
	v_ashrrev_i32_e32 v11, 31, v10
	s_delay_alu instid0(VALU_DEP_1) | instskip(NEXT) | instid1(VALU_DEP_1)
	v_lshlrev_b64 v[10:11], 2, v[10:11]
	v_add_co_u32 v10, vcc_lo, s10, v10
	s_delay_alu instid0(VALU_DEP_2)
	v_add_co_ci_u32_e32 v11, vcc_lo, s11, v11, vcc_lo
	s_clause 0x1
	global_load_b32 v8, v[8:9], off
	global_load_b32 v9, v[10:11], off
	s_waitcnt vmcnt(0)
	v_fmac_f32_e32 v17, v8, v9
	s_branch .LBB1_7
.LBB1_10:                               ;   in Loop: Header=BB1_4 Depth=1
	s_or_b32 exec_lo, exec_lo, s31
.LBB1_11:                               ;   in Loop: Header=BB1_4 Depth=1
	s_delay_alu instid0(SALU_CYCLE_1)
	s_or_b32 exec_lo, exec_lo, s30
	s_waitcnt vmcnt(1)
	v_sub_f32_e32 v19, v17, v16
	s_mov_b32 s30, exec_lo
	v_cmpx_lt_i32_e64 v6, v20
	s_cbranch_execz .LBB1_19
; %bb.12:                               ;   in Loop: Header=BB1_4 Depth=1
	v_ashrrev_i32_e32 v7, 31, v6
	s_mov_b32 s31, 0
                                        ; implicit-def: $sgpr33
                                        ; implicit-def: $sgpr35
                                        ; implicit-def: $sgpr34
	s_delay_alu instid0(VALU_DEP_1) | instskip(NEXT) | instid1(VALU_DEP_1)
	v_lshlrev_b64 v[8:9], 2, v[6:7]
	v_add_co_u32 v8, vcc_lo, s6, v8
	s_delay_alu instid0(VALU_DEP_2)
	v_add_co_ci_u32_e32 v9, vcc_lo, s7, v9, vcc_lo
	s_set_inst_prefetch_distance 0x1
	s_branch .LBB1_14
	.p2align	6
.LBB1_13:                               ;   in Loop: Header=BB1_14 Depth=2
	s_or_b32 exec_lo, exec_lo, s36
	s_delay_alu instid0(SALU_CYCLE_1) | instskip(NEXT) | instid1(SALU_CYCLE_1)
	s_and_b32 s2, exec_lo, s35
	s_or_b32 s31, s2, s31
	s_and_not1_b32 s2, s33, exec_lo
	s_and_b32 s33, s34, exec_lo
	s_delay_alu instid0(SALU_CYCLE_1)
	s_or_b32 s33, s2, s33
	s_and_not1_b32 exec_lo, exec_lo, s31
	s_cbranch_execz .LBB1_16
.LBB1_14:                               ;   Parent Loop BB1_4 Depth=1
                                        ; =>  This Inner Loop Header: Depth=2
	global_load_b32 v5, v[8:9], off
	v_dual_mov_b32 v11, v7 :: v_dual_mov_b32 v10, v6
	s_or_b32 s34, s34, exec_lo
	s_or_b32 s35, s35, exec_lo
	s_mov_b32 s36, exec_lo
                                        ; implicit-def: $vgpr6_vgpr7
	s_waitcnt vmcnt(0)
	v_cmpx_ne_u32_e64 v5, v14
	s_cbranch_execz .LBB1_13
; %bb.15:                               ;   in Loop: Header=BB1_14 Depth=2
	v_add_co_u32 v6, vcc_lo, v10, 1
	v_add_co_ci_u32_e32 v7, vcc_lo, 0, v11, vcc_lo
	v_add_co_u32 v8, s2, v8, 4
	s_delay_alu instid0(VALU_DEP_3) | instskip(SKIP_4) | instid1(SALU_CYCLE_1)
	v_cmp_ge_i32_e32 vcc_lo, v6, v20
	v_add_co_ci_u32_e64 v9, s2, 0, v9, s2
	s_and_not1_b32 s2, s35, exec_lo
	s_and_not1_b32 s34, s34, exec_lo
	s_and_b32 s35, vcc_lo, exec_lo
	s_or_b32 s35, s2, s35
	s_branch .LBB1_13
.LBB1_16:                               ;   in Loop: Header=BB1_4 Depth=1
	s_set_inst_prefetch_distance 0x2
	s_or_b32 exec_lo, exec_lo, s31
	s_and_saveexec_b32 s2, s33
	s_delay_alu instid0(SALU_CYCLE_1)
	s_xor_b32 s2, exec_lo, s2
	s_cbranch_execz .LBB1_18
; %bb.17:                               ;   in Loop: Header=BB1_4 Depth=1
	v_lshlrev_b64 v[5:6], 2, v[10:11]
	s_delay_alu instid0(VALU_DEP_1) | instskip(NEXT) | instid1(VALU_DEP_2)
	v_add_co_u32 v5, vcc_lo, s8, v5
	v_add_co_ci_u32_e32 v6, vcc_lo, s9, v6, vcc_lo
	global_load_b32 v5, v[5:6], off
	s_waitcnt vmcnt(0)
	v_ashrrev_i32_e32 v6, 31, v5
	s_delay_alu instid0(VALU_DEP_1) | instskip(NEXT) | instid1(VALU_DEP_1)
	v_lshlrev_b64 v[5:6], 2, v[5:6]
	v_add_co_u32 v5, vcc_lo, s10, v5
	s_delay_alu instid0(VALU_DEP_2)
	v_add_co_ci_u32_e32 v6, vcc_lo, s11, v6, vcc_lo
	global_load_b32 v5, v[5:6], off
	s_waitcnt vmcnt(0)
	v_add_f32_e32 v19, v19, v5
.LBB1_18:                               ;   in Loop: Header=BB1_4 Depth=1
	s_or_b32 exec_lo, exec_lo, s2
.LBB1_19:                               ;   in Loop: Header=BB1_4 Depth=1
	s_delay_alu instid0(SALU_CYCLE_1) | instskip(NEXT) | instid1(SALU_CYCLE_1)
	s_or_b32 exec_lo, exec_lo, s30
	s_mov_b32 s30, exec_lo
	v_cmpx_lt_i32_e64 v4, v18
	s_cbranch_execz .LBB1_27
; %bb.20:                               ;   in Loop: Header=BB1_4 Depth=1
	v_ashrrev_i32_e32 v5, 31, v4
	s_mov_b32 s31, 0
                                        ; implicit-def: $sgpr33
                                        ; implicit-def: $sgpr35
                                        ; implicit-def: $sgpr34
	s_delay_alu instid0(VALU_DEP_1) | instskip(NEXT) | instid1(VALU_DEP_1)
	v_lshlrev_b64 v[6:7], 2, v[4:5]
	v_add_co_u32 v6, vcc_lo, s16, v6
	s_delay_alu instid0(VALU_DEP_2)
	v_add_co_ci_u32_e32 v7, vcc_lo, s17, v7, vcc_lo
	s_set_inst_prefetch_distance 0x1
	s_branch .LBB1_22
	.p2align	6
.LBB1_21:                               ;   in Loop: Header=BB1_22 Depth=2
	s_or_b32 exec_lo, exec_lo, s36
	s_delay_alu instid0(SALU_CYCLE_1) | instskip(NEXT) | instid1(SALU_CYCLE_1)
	s_and_b32 s2, exec_lo, s35
	s_or_b32 s31, s2, s31
	s_and_not1_b32 s2, s33, exec_lo
	s_and_b32 s33, s34, exec_lo
	s_delay_alu instid0(SALU_CYCLE_1)
	s_or_b32 s33, s2, s33
	s_and_not1_b32 exec_lo, exec_lo, s31
	s_cbranch_execz .LBB1_24
.LBB1_22:                               ;   Parent Loop BB1_4 Depth=1
                                        ; =>  This Inner Loop Header: Depth=2
	global_load_b32 v10, v[6:7], off
	v_dual_mov_b32 v9, v5 :: v_dual_mov_b32 v8, v4
	s_or_b32 s34, s34, exec_lo
	s_or_b32 s35, s35, exec_lo
	s_mov_b32 s36, exec_lo
                                        ; implicit-def: $vgpr4_vgpr5
	s_waitcnt vmcnt(0)
	v_cmpx_ne_u32_e64 v10, v13
	s_cbranch_execz .LBB1_21
; %bb.23:                               ;   in Loop: Header=BB1_22 Depth=2
	v_add_co_u32 v4, vcc_lo, v8, 1
	v_add_co_ci_u32_e32 v5, vcc_lo, 0, v9, vcc_lo
	v_add_co_u32 v6, s2, v6, 4
	s_delay_alu instid0(VALU_DEP_3) | instskip(SKIP_4) | instid1(SALU_CYCLE_1)
	v_cmp_ge_i32_e32 vcc_lo, v4, v18
	v_add_co_ci_u32_e64 v7, s2, 0, v7, s2
	s_and_not1_b32 s2, s35, exec_lo
	s_and_not1_b32 s34, s34, exec_lo
	s_and_b32 s35, vcc_lo, exec_lo
	s_or_b32 s35, s2, s35
	s_branch .LBB1_21
.LBB1_24:                               ;   in Loop: Header=BB1_4 Depth=1
	s_set_inst_prefetch_distance 0x2
	s_or_b32 exec_lo, exec_lo, s31
	s_and_saveexec_b32 s2, s33
	s_delay_alu instid0(SALU_CYCLE_1)
	s_xor_b32 s2, exec_lo, s2
	s_cbranch_execz .LBB1_26
; %bb.25:                               ;   in Loop: Header=BB1_4 Depth=1
	v_lshlrev_b64 v[4:5], 2, v[8:9]
	s_delay_alu instid0(VALU_DEP_1) | instskip(NEXT) | instid1(VALU_DEP_2)
	v_add_co_u32 v4, vcc_lo, s10, v4
	v_add_co_ci_u32_e32 v5, vcc_lo, s11, v5, vcc_lo
	global_load_b32 v4, v[4:5], off
	s_waitcnt vmcnt(0)
	v_fmac_f32_e32 v19, v4, v15
.LBB1_26:                               ;   in Loop: Header=BB1_4 Depth=1
	s_or_b32 exec_lo, exec_lo, s2
.LBB1_27:                               ;   in Loop: Header=BB1_4 Depth=1
	s_delay_alu instid0(SALU_CYCLE_1) | instskip(SKIP_2) | instid1(VALU_DEP_1)
	s_or_b32 exec_lo, exec_lo, s30
	v_sub_f32_e32 v5, v16, v17
	s_waitcnt vmcnt(0)
	v_div_scale_f32 v4, null, v15, v15, v5
	s_delay_alu instid0(VALU_DEP_1) | instskip(SKIP_2) | instid1(VALU_DEP_1)
	v_rcp_f32_e32 v6, v4
	s_waitcnt_depctr 0xfff
	v_fma_f32 v7, -v4, v6, 1.0
	v_fmac_f32_e32 v6, v7, v6
	v_div_scale_f32 v7, vcc_lo, v5, v15, v5
	s_delay_alu instid0(VALU_DEP_1) | instskip(NEXT) | instid1(VALU_DEP_1)
	v_mul_f32_e32 v8, v7, v6
	v_fma_f32 v9, -v4, v8, v7
	s_delay_alu instid0(VALU_DEP_1) | instskip(NEXT) | instid1(VALU_DEP_1)
	v_fmac_f32_e32 v8, v9, v6
	v_fma_f32 v4, -v4, v8, v7
	s_delay_alu instid0(VALU_DEP_1) | instskip(SKIP_2) | instid1(VALU_DEP_3)
	v_div_fmas_f32 v4, v4, v6, v8
	v_add_f32_e32 v6, v15, v19
	v_cmp_eq_u32_e32 vcc_lo, v14, v13
	v_div_fixup_f32 v7, v4, v15, v5
	s_delay_alu instid0(VALU_DEP_3) | instskip(SKIP_1) | instid1(VALU_DEP_2)
	v_cndmask_b32_e32 v4, v19, v6, vcc_lo
	v_cmp_gt_i32_e32 vcc_lo, v14, v13
	v_cmp_nlg_f32_e64 s2, 0x7f800000, |v4|
	s_delay_alu instid0(VALU_DEP_4) | instskip(SKIP_1) | instid1(VALU_DEP_2)
	v_cndmask_b32_e32 v5, v5, v7, vcc_lo
	v_cmp_gt_f32_e64 s30, v12, |v4|
	v_cmp_class_f32_e64 s33, v5, 0x1f8
	s_delay_alu instid0(VALU_DEP_1)
	s_and_saveexec_b32 s31, s33
	s_cbranch_execz .LBB1_2
; %bb.28:                               ;   in Loop: Header=BB1_4 Depth=1
	v_add_co_u32 v2, vcc_lo, s10, v2
	v_add_co_ci_u32_e32 v3, vcc_lo, s11, v3, vcc_lo
	global_store_b32 v[2:3], v5, off
	s_branch .LBB1_2
.LBB1_29:
	s_or_b32 exec_lo, exec_lo, s26
	v_mbcnt_lo_u32_b32 v1, -1, 0
	s_mov_b32 s2, exec_lo
	s_delay_alu instid0(VALU_DEP_1) | instskip(SKIP_2) | instid1(VALU_DEP_3)
	v_or_b32_e32 v2, 32, v1
	v_xor_b32_e32 v3, 16, v1
	v_xor_b32_e32 v4, 8, v1
	v_cmp_gt_i32_e32 vcc_lo, 32, v2
	v_cndmask_b32_e32 v2, v1, v2, vcc_lo
	s_delay_alu instid0(VALU_DEP_4) | instskip(SKIP_1) | instid1(VALU_DEP_1)
	v_cmp_gt_i32_e32 vcc_lo, 32, v3
	v_cndmask_b32_e32 v3, v1, v3, vcc_lo
	v_lshlrev_b32_e32 v3, 2, v3
	s_delay_alu instid0(VALU_DEP_4)
	v_lshlrev_b32_e32 v2, 2, v2
	ds_bpermute_b32 v2, v2, v12
	s_waitcnt lgkmcnt(0)
	v_cmp_lt_f32_e32 vcc_lo, v12, v2
	v_cndmask_b32_e32 v2, v12, v2, vcc_lo
	v_cmp_gt_i32_e32 vcc_lo, 32, v4
	ds_bpermute_b32 v3, v3, v2
	v_cndmask_b32_e32 v4, v1, v4, vcc_lo
	s_delay_alu instid0(VALU_DEP_1)
	v_lshlrev_b32_e32 v4, 2, v4
	s_waitcnt lgkmcnt(0)
	v_cmp_lt_f32_e32 vcc_lo, v2, v3
	v_cndmask_b32_e32 v2, v2, v3, vcc_lo
	ds_bpermute_b32 v3, v4, v2
	v_xor_b32_e32 v4, 4, v1
	s_delay_alu instid0(VALU_DEP_1) | instskip(SKIP_1) | instid1(VALU_DEP_1)
	v_cmp_gt_i32_e32 vcc_lo, 32, v4
	v_cndmask_b32_e32 v4, v1, v4, vcc_lo
	v_lshlrev_b32_e32 v4, 2, v4
	s_waitcnt lgkmcnt(0)
	v_cmp_lt_f32_e32 vcc_lo, v2, v3
	v_cndmask_b32_e32 v2, v2, v3, vcc_lo
	ds_bpermute_b32 v3, v4, v2
	v_xor_b32_e32 v4, 2, v1
	s_delay_alu instid0(VALU_DEP_1) | instskip(SKIP_1) | instid1(VALU_DEP_1)
	v_cmp_gt_i32_e32 vcc_lo, 32, v4
	v_cndmask_b32_e32 v4, v1, v4, vcc_lo
	v_lshlrev_b32_e32 v4, 2, v4
	s_waitcnt lgkmcnt(0)
	v_cmp_lt_f32_e32 vcc_lo, v2, v3
	v_cndmask_b32_e32 v2, v2, v3, vcc_lo
	ds_bpermute_b32 v3, v4, v2
	v_xor_b32_e32 v4, 1, v1
	s_delay_alu instid0(VALU_DEP_1)
	v_cmp_gt_i32_e32 vcc_lo, 32, v4
	v_cndmask_b32_e32 v4, v1, v4, vcc_lo
	s_waitcnt lgkmcnt(0)
	v_cmp_lt_f32_e32 vcc_lo, v2, v3
	v_cndmask_b32_e32 v1, v2, v3, vcc_lo
	v_and_b32_e32 v3, 63, v0
	v_lshlrev_b32_e32 v2, 2, v4
	ds_bpermute_b32 v2, v2, v1
	v_cmpx_eq_u32_e32 63, v3
	s_cbranch_execz .LBB1_31
; %bb.30:
	v_lshrrev_b32_e32 v3, 4, v0
	s_waitcnt lgkmcnt(0)
	v_cmp_lt_f32_e32 vcc_lo, v1, v2
	s_delay_alu instid0(VALU_DEP_2)
	v_and_b32_e32 v3, 60, v3
	v_cndmask_b32_e32 v1, v1, v2, vcc_lo
	ds_store_b32 v3, v1
.LBB1_31:
	s_or_b32 exec_lo, exec_lo, s2
	v_lshlrev_b32_e32 v1, 2, v0
	s_mov_b32 s2, exec_lo
	s_waitcnt lgkmcnt(0)
	s_waitcnt_vscnt null, 0x0
	s_barrier
	buffer_gl0_inv
	v_cmpx_gt_u32_e32 8, v0
	s_cbranch_execz .LBB1_33
; %bb.32:
	ds_load_2addr_b32 v[2:3], v1 offset1:8
	s_waitcnt lgkmcnt(0)
	v_cmp_lt_f32_e32 vcc_lo, v2, v3
	v_cndmask_b32_e32 v2, v2, v3, vcc_lo
	ds_store_b32 v1, v2
.LBB1_33:
	s_or_b32 exec_lo, exec_lo, s2
	s_delay_alu instid0(SALU_CYCLE_1)
	s_mov_b32 s2, exec_lo
	s_waitcnt lgkmcnt(0)
	s_barrier
	buffer_gl0_inv
	v_cmpx_gt_u32_e32 4, v0
	s_cbranch_execz .LBB1_35
; %bb.34:
	ds_load_2addr_b32 v[2:3], v1 offset1:4
	s_waitcnt lgkmcnt(0)
	v_cmp_lt_f32_e32 vcc_lo, v2, v3
	v_cndmask_b32_e32 v2, v2, v3, vcc_lo
	ds_store_b32 v1, v2
.LBB1_35:
	s_or_b32 exec_lo, exec_lo, s2
	s_delay_alu instid0(SALU_CYCLE_1)
	s_mov_b32 s2, exec_lo
	s_waitcnt lgkmcnt(0)
	s_barrier
	buffer_gl0_inv
	v_cmpx_gt_u32_e32 2, v0
	s_cbranch_execz .LBB1_37
; %bb.36:
	ds_load_2addr_b32 v[2:3], v1 offset1:2
	s_waitcnt lgkmcnt(0)
	v_cmp_lt_f32_e32 vcc_lo, v2, v3
	v_cndmask_b32_e32 v2, v2, v3, vcc_lo
	ds_store_b32 v1, v2
.LBB1_37:
	s_or_b32 exec_lo, exec_lo, s2
	v_cmp_eq_u32_e32 vcc_lo, 0, v0
	s_waitcnt lgkmcnt(0)
	s_barrier
	buffer_gl0_inv
	s_and_saveexec_b32 s3, vcc_lo
	s_cbranch_execz .LBB1_39
; %bb.38:
	v_mov_b32_e32 v2, 0
	ds_load_b64 v[0:1], v2
	s_waitcnt lgkmcnt(0)
	v_cmp_lt_f32_e64 s2, v0, v1
	s_delay_alu instid0(VALU_DEP_1)
	v_cndmask_b32_e64 v0, v0, v1, s2
	ds_store_b32 v2, v0
.LBB1_39:
	s_or_b32 exec_lo, exec_lo, s3
	s_waitcnt lgkmcnt(0)
	s_barrier
	buffer_gl0_inv
	s_and_saveexec_b32 s2, vcc_lo
	s_cbranch_execz .LBB1_44
; %bb.40:
	s_load_b128 s[4:7], s[0:1], 0x68
	v_mov_b32_e32 v2, 0
	s_mov_b32 s1, 0
                                        ; implicit-def: $sgpr2
                                        ; implicit-def: $sgpr3
	ds_load_b32 v0, v2
	s_waitcnt lgkmcnt(0)
	s_load_b32 s0, s[6:7], 0x0
	s_waitcnt lgkmcnt(0)
	v_div_scale_f32 v3, null, s0, s0, v0
	v_div_scale_f32 v6, vcc_lo, v0, s0, v0
	s_delay_alu instid0(VALU_DEP_2) | instskip(SKIP_2) | instid1(VALU_DEP_1)
	v_rcp_f32_e32 v4, v3
	s_waitcnt_depctr 0xfff
	v_fma_f32 v5, -v3, v4, 1.0
	v_fmac_f32_e32 v4, v5, v4
	s_delay_alu instid0(VALU_DEP_1) | instskip(SKIP_2) | instid1(VALU_DEP_1)
	v_mul_f32_e32 v5, v6, v4
	global_load_b32 v1, v2, s[4:5] glc
	v_fma_f32 v7, -v3, v5, v6
	v_fmac_f32_e32 v5, v7, v4
	s_delay_alu instid0(VALU_DEP_1) | instskip(NEXT) | instid1(VALU_DEP_1)
	v_fma_f32 v3, -v3, v5, v6
	v_div_fmas_f32 v3, v3, v4, v5
	s_delay_alu instid0(VALU_DEP_1) | instskip(NEXT) | instid1(VALU_DEP_1)
	v_div_fixup_f32 v0, v3, s0, v0
	v_cmp_eq_f32_e32 vcc_lo, 0, v0
	s_waitcnt vmcnt(0)
	v_cmp_eq_u32_e64 s6, 0x80000000, v1
	s_set_inst_prefetch_distance 0x1
	s_branch .LBB1_42
	.p2align	6
.LBB1_41:                               ;   in Loop: Header=BB1_42 Depth=1
	s_or_b32 exec_lo, exec_lo, s7
	s_delay_alu instid0(SALU_CYCLE_1) | instskip(NEXT) | instid1(SALU_CYCLE_1)
	s_and_b32 s0, exec_lo, s2
	s_or_b32 s1, s0, s1
	s_and_not1_b32 s0, s6, exec_lo
	s_and_b32 s6, s3, exec_lo
	s_delay_alu instid0(SALU_CYCLE_1)
	s_or_b32 s6, s0, s6
	s_and_not1_b32 exec_lo, exec_lo, s1
	s_cbranch_execz .LBB1_44
.LBB1_42:                               ; =>This Inner Loop Header: Depth=1
	v_cmp_lt_f32_e64 s0, v1, v0
	s_delay_alu instid0(VALU_DEP_2) | instskip(SKIP_2) | instid1(VALU_DEP_1)
	s_and_b32 s7, vcc_lo, s6
	s_and_not1_b32 s3, s3, exec_lo
	s_or_b32 s2, s2, exec_lo
	s_or_b32 s0, s0, s7
	s_delay_alu instid0(SALU_CYCLE_1)
	s_and_saveexec_b32 s7, s0
	s_cbranch_execz .LBB1_41
; %bb.43:                               ;   in Loop: Header=BB1_42 Depth=1
	global_atomic_cmpswap_b32 v3, v2, v[0:1], s[4:5] glc
	s_and_not1_b32 s3, s3, exec_lo
	s_and_not1_b32 s2, s2, exec_lo
	s_waitcnt vmcnt(0)
	v_cmp_eq_u32_e64 s0, v3, v1
	s_delay_alu instid0(VALU_DEP_1) | instskip(SKIP_1) | instid1(SALU_CYCLE_1)
	v_cndmask_b32_e64 v1, v3, v1, s0
	s_and_b32 s0, s0, exec_lo
	s_or_b32 s2, s2, s0
	s_delay_alu instid0(VALU_DEP_1) | instskip(SKIP_1) | instid1(VALU_DEP_2)
	v_cmp_class_f32_e64 s6, v1, 32
	v_mov_b32_e32 v1, v3
	s_and_b32 s6, s6, exec_lo
	s_delay_alu instid0(SALU_CYCLE_1)
	s_or_b32 s3, s3, s6
                                        ; implicit-def: $sgpr6
	s_branch .LBB1_41
.LBB1_44:
	s_set_inst_prefetch_distance 0x2
	s_endpgm
	.section	.rodata,"a",@progbits
	.p2align	6, 0x0
	.amdhsa_kernel _ZN9rocsparseL20kernel_calculate_cooILi1024ELi64ELb1EfiiEEvT4_T3_PKS1_S4_PKT2_21rocsparse_index_base_PKS2_SA_S4_SA_SA_S4_SA_PS5_PNS_15floating_traitsIS5_E6data_tEPKSE_
		.amdhsa_group_segment_fixed_size 64
		.amdhsa_private_segment_fixed_size 0
		.amdhsa_kernarg_size 120
		.amdhsa_user_sgpr_count 15
		.amdhsa_user_sgpr_dispatch_ptr 0
		.amdhsa_user_sgpr_queue_ptr 0
		.amdhsa_user_sgpr_kernarg_segment_ptr 1
		.amdhsa_user_sgpr_dispatch_id 0
		.amdhsa_user_sgpr_private_segment_size 0
		.amdhsa_wavefront_size32 1
		.amdhsa_uses_dynamic_stack 0
		.amdhsa_enable_private_segment 0
		.amdhsa_system_sgpr_workgroup_id_x 1
		.amdhsa_system_sgpr_workgroup_id_y 0
		.amdhsa_system_sgpr_workgroup_id_z 0
		.amdhsa_system_sgpr_workgroup_info 0
		.amdhsa_system_vgpr_workitem_id 0
		.amdhsa_next_free_vgpr 25
		.amdhsa_next_free_sgpr 37
		.amdhsa_reserve_vcc 1
		.amdhsa_float_round_mode_32 0
		.amdhsa_float_round_mode_16_64 0
		.amdhsa_float_denorm_mode_32 3
		.amdhsa_float_denorm_mode_16_64 3
		.amdhsa_dx10_clamp 1
		.amdhsa_ieee_mode 1
		.amdhsa_fp16_overflow 0
		.amdhsa_workgroup_processor_mode 1
		.amdhsa_memory_ordered 1
		.amdhsa_forward_progress 0
		.amdhsa_shared_vgpr_count 0
		.amdhsa_exception_fp_ieee_invalid_op 0
		.amdhsa_exception_fp_denorm_src 0
		.amdhsa_exception_fp_ieee_div_zero 0
		.amdhsa_exception_fp_ieee_overflow 0
		.amdhsa_exception_fp_ieee_underflow 0
		.amdhsa_exception_fp_ieee_inexact 0
		.amdhsa_exception_int_div_zero 0
	.end_amdhsa_kernel
	.section	.text._ZN9rocsparseL20kernel_calculate_cooILi1024ELi64ELb1EfiiEEvT4_T3_PKS1_S4_PKT2_21rocsparse_index_base_PKS2_SA_S4_SA_SA_S4_SA_PS5_PNS_15floating_traitsIS5_E6data_tEPKSE_,"axG",@progbits,_ZN9rocsparseL20kernel_calculate_cooILi1024ELi64ELb1EfiiEEvT4_T3_PKS1_S4_PKT2_21rocsparse_index_base_PKS2_SA_S4_SA_SA_S4_SA_PS5_PNS_15floating_traitsIS5_E6data_tEPKSE_,comdat
.Lfunc_end1:
	.size	_ZN9rocsparseL20kernel_calculate_cooILi1024ELi64ELb1EfiiEEvT4_T3_PKS1_S4_PKT2_21rocsparse_index_base_PKS2_SA_S4_SA_SA_S4_SA_PS5_PNS_15floating_traitsIS5_E6data_tEPKSE_, .Lfunc_end1-_ZN9rocsparseL20kernel_calculate_cooILi1024ELi64ELb1EfiiEEvT4_T3_PKS1_S4_PKT2_21rocsparse_index_base_PKS2_SA_S4_SA_SA_S4_SA_PS5_PNS_15floating_traitsIS5_E6data_tEPKSE_
                                        ; -- End function
	.section	.AMDGPU.csdata,"",@progbits
; Kernel info:
; codeLenInByte = 2528
; NumSgprs: 39
; NumVgprs: 25
; ScratchSize: 0
; MemoryBound: 0
; FloatMode: 240
; IeeeMode: 1
; LDSByteSize: 64 bytes/workgroup (compile time only)
; SGPRBlocks: 4
; VGPRBlocks: 3
; NumSGPRsForWavesPerEU: 39
; NumVGPRsForWavesPerEU: 25
; Occupancy: 16
; WaveLimiterHint : 1
; COMPUTE_PGM_RSRC2:SCRATCH_EN: 0
; COMPUTE_PGM_RSRC2:USER_SGPR: 15
; COMPUTE_PGM_RSRC2:TRAP_HANDLER: 0
; COMPUTE_PGM_RSRC2:TGID_X_EN: 1
; COMPUTE_PGM_RSRC2:TGID_Y_EN: 0
; COMPUTE_PGM_RSRC2:TGID_Z_EN: 0
; COMPUTE_PGM_RSRC2:TIDIG_COMP_CNT: 0
	.section	.text._ZN9rocsparseL16kernel_calculateILi1024ELi1ELb1EfiiEEvT4_T3_PKS2_S4_PKS1_PKT2_21rocsparse_index_base_S4_S4_S6_S4_S4_S6_S4_PS7_PNS_15floating_traitsIS7_E6data_tEPKSE_,"axG",@progbits,_ZN9rocsparseL16kernel_calculateILi1024ELi1ELb1EfiiEEvT4_T3_PKS2_S4_PKS1_PKT2_21rocsparse_index_base_S4_S4_S6_S4_S4_S6_S4_PS7_PNS_15floating_traitsIS7_E6data_tEPKSE_,comdat
	.globl	_ZN9rocsparseL16kernel_calculateILi1024ELi1ELb1EfiiEEvT4_T3_PKS2_S4_PKS1_PKT2_21rocsparse_index_base_S4_S4_S6_S4_S4_S6_S4_PS7_PNS_15floating_traitsIS7_E6data_tEPKSE_ ; -- Begin function _ZN9rocsparseL16kernel_calculateILi1024ELi1ELb1EfiiEEvT4_T3_PKS2_S4_PKS1_PKT2_21rocsparse_index_base_S4_S4_S6_S4_S4_S6_S4_PS7_PNS_15floating_traitsIS7_E6data_tEPKSE_
	.p2align	8
	.type	_ZN9rocsparseL16kernel_calculateILi1024ELi1ELb1EfiiEEvT4_T3_PKS2_S4_PKS1_PKT2_21rocsparse_index_base_S4_S4_S6_S4_S4_S6_S4_PS7_PNS_15floating_traitsIS7_E6data_tEPKSE_,@function
_ZN9rocsparseL16kernel_calculateILi1024ELi1ELb1EfiiEEvT4_T3_PKS2_S4_PKS1_PKT2_21rocsparse_index_base_S4_S4_S6_S4_S4_S6_S4_PS7_PNS_15floating_traitsIS7_E6data_tEPKSE_: ; @_ZN9rocsparseL16kernel_calculateILi1024ELi1ELb1EfiiEEvT4_T3_PKS2_S4_PKS1_PKT2_21rocsparse_index_base_S4_S4_S6_S4_S4_S6_S4_PS7_PNS_15floating_traitsIS7_E6data_tEPKSE_
; %bb.0:
	s_load_b32 s2, s[0:1], 0x0
	v_lshl_or_b32 v1, s15, 10, v0
	v_mov_b32_e32 v15, 0
	s_mov_b32 s24, exec_lo
	s_waitcnt lgkmcnt(0)
	s_delay_alu instid0(VALU_DEP_2)
	v_cmpx_gt_i32_e64 s2, v1
	s_cbranch_execz .LBB2_30
; %bb.1:
	s_load_b128 s[4:7], s[0:1], 0x8
	v_ashrrev_i32_e32 v2, 31, v1
	v_mov_b32_e32 v15, 0
	s_mov_b32 s25, exec_lo
	s_delay_alu instid0(VALU_DEP_2) | instskip(SKIP_1) | instid1(VALU_DEP_1)
	v_lshlrev_b64 v[2:3], 2, v[1:2]
	s_waitcnt lgkmcnt(0)
	v_add_co_u32 v4, vcc_lo, s6, v2
	s_delay_alu instid0(VALU_DEP_2)
	v_add_co_ci_u32_e32 v5, vcc_lo, s7, v3, vcc_lo
	v_add_co_u32 v6, vcc_lo, s4, v2
	v_add_co_ci_u32_e32 v7, vcc_lo, s5, v3, vcc_lo
	global_load_b32 v4, v[4:5], off
	global_load_b32 v5, v[6:7], off
	s_waitcnt vmcnt(0)
	v_cmpx_lt_i32_e64 v5, v4
	s_cbranch_execz .LBB2_29
; %bb.2:
	s_load_b256 s[4:11], s[0:1], 0x30
	v_mov_b32_e32 v15, 0
	s_mov_b32 s26, 0
	s_waitcnt lgkmcnt(0)
	v_add_co_u32 v6, vcc_lo, s6, v2
	v_add_co_ci_u32_e32 v7, vcc_lo, s7, v3, vcc_lo
	v_add_co_u32 v2, vcc_lo, s4, v2
	v_add_co_ci_u32_e32 v3, vcc_lo, s5, v3, vcc_lo
	global_load_b32 v6, v[6:7], off
	global_load_b32 v3, v[2:3], off
	s_clause 0x2
	s_load_b32 s5, s[0:1], 0x28
	s_load_b128 s[20:23], s[0:1], 0x18
	s_load_b256 s[12:19], s[0:1], 0x50
	s_waitcnt lgkmcnt(0)
	v_subrev_nc_u32_e32 v16, s5, v4
	v_subrev_nc_u32_e32 v2, s5, v5
	s_waitcnt vmcnt(1)
	v_subrev_nc_u32_e32 v17, s5, v6
	s_waitcnt vmcnt(0)
	v_subrev_nc_u32_e32 v18, s5, v3
	v_cmp_lt_i32_e64 s2, v3, v6
	s_branch .LBB2_4
.LBB2_3:                                ;   in Loop: Header=BB2_4 Depth=1
	s_or_b32 exec_lo, exec_lo, s3
	v_add_f32_e32 v4, v4, v22
	v_cmp_eq_u32_e32 vcc_lo, v1, v3
	s_delay_alu instid0(VALU_DEP_2) | instskip(NEXT) | instid1(VALU_DEP_1)
	v_dual_cndmask_b32 v3, v22, v4 :: v_dual_add_nc_u32 v2, 1, v2
	v_cmp_ge_i32_e64 s4, v2, v16
	s_delay_alu instid0(VALU_DEP_2) | instskip(NEXT) | instid1(VALU_DEP_1)
	v_and_b32_e32 v3, 0x7fffffff, v3
	v_cmp_nlg_f32_e32 vcc_lo, 0x7f800000, v3
	v_cmp_gt_f32_e64 s3, v15, v3
	s_delay_alu instid0(VALU_DEP_1)
	s_or_b32 vcc_lo, vcc_lo, s3
	s_or_b32 s26, s4, s26
	v_cndmask_b32_e32 v15, v3, v15, vcc_lo
	s_and_not1_b32 exec_lo, exec_lo, s26
	s_cbranch_execz .LBB2_28
.LBB2_4:                                ; =>This Loop Header: Depth=1
                                        ;     Child Loop BB2_7 Depth 2
                                        ;     Child Loop BB2_13 Depth 2
	;; [unrolled: 1-line block ×3, first 2 shown]
	v_ashrrev_i32_e32 v3, 31, v2
	v_mov_b32_e32 v21, 0
	s_delay_alu instid0(VALU_DEP_2) | instskip(NEXT) | instid1(VALU_DEP_1)
	v_lshlrev_b64 v[5:6], 2, v[2:3]
	v_add_co_u32 v3, vcc_lo, s20, v5
	s_delay_alu instid0(VALU_DEP_2) | instskip(SKIP_3) | instid1(VALU_DEP_1)
	v_add_co_ci_u32_e32 v4, vcc_lo, s21, v6, vcc_lo
	global_load_b32 v19, v[3:4], off
	s_waitcnt vmcnt(0)
	v_subrev_nc_u32_e32 v3, s5, v19
	v_ashrrev_i32_e32 v4, 31, v3
	s_delay_alu instid0(VALU_DEP_1) | instskip(NEXT) | instid1(VALU_DEP_1)
	v_lshlrev_b64 v[7:8], 2, v[3:4]
	v_add_co_u32 v9, vcc_lo, s6, v7
	s_delay_alu instid0(VALU_DEP_2)
	v_add_co_ci_u32_e32 v10, vcc_lo, s7, v8, vcc_lo
	v_add_co_u32 v11, vcc_lo, s12, v7
	v_add_co_ci_u32_e32 v12, vcc_lo, s13, v8, vcc_lo
	global_load_b32 v4, v[9:10], off
	v_add_co_u32 v7, vcc_lo, s10, v7
	v_add_co_ci_u32_e32 v8, vcc_lo, s11, v8, vcc_lo
	v_add_co_u32 v13, vcc_lo, s22, v5
	v_add_co_ci_u32_e32 v14, vcc_lo, s23, v6, vcc_lo
	global_load_b32 v11, v[11:12], off
	global_load_b32 v12, v[7:8], off
	s_waitcnt vmcnt(2)
	v_subrev_nc_u32_e32 v9, s5, v4
	s_delay_alu instid0(VALU_DEP_1) | instskip(SKIP_2) | instid1(VALU_DEP_2)
	v_ashrrev_i32_e32 v10, 31, v9
	s_waitcnt vmcnt(1)
	v_subrev_nc_u32_e32 v23, s5, v11
	v_lshlrev_b64 v[9:10], 2, v[9:10]
	s_delay_alu instid0(VALU_DEP_1) | instskip(NEXT) | instid1(VALU_DEP_2)
	v_add_co_u32 v7, vcc_lo, s18, v9
	v_add_co_ci_u32_e32 v8, vcc_lo, s19, v10, vcc_lo
	s_waitcnt vmcnt(0)
	v_cmp_lt_i32_e32 vcc_lo, v12, v11
	global_load_b32 v20, v[13:14], off
	global_load_b32 v4, v[7:8], off
	v_subrev_nc_u32_e32 v9, s5, v12
	v_mov_b32_e32 v7, v18
	s_and_b32 s3, s2, vcc_lo
	s_delay_alu instid0(SALU_CYCLE_1)
	s_and_saveexec_b32 s4, s3
	s_cbranch_execz .LBB2_10
; %bb.5:                                ;   in Loop: Header=BB2_4 Depth=1
	v_mov_b32_e32 v21, 0
	v_mov_b32_e32 v7, v18
	s_mov_b32 s27, 0
	s_branch .LBB2_7
.LBB2_6:                                ;   in Loop: Header=BB2_7 Depth=2
	s_or_b32 exec_lo, exec_lo, s3
	v_cmp_le_i32_e32 vcc_lo, v8, v10
	v_add_co_ci_u32_e32 v7, vcc_lo, 0, v7, vcc_lo
	v_cmp_ge_i32_e32 vcc_lo, v8, v10
	v_add_co_ci_u32_e32 v9, vcc_lo, 0, v9, vcc_lo
	s_delay_alu instid0(VALU_DEP_3) | instskip(NEXT) | instid1(VALU_DEP_2)
	v_cmp_ge_i32_e32 vcc_lo, v7, v17
	v_cmp_ge_i32_e64 s3, v9, v23
	s_delay_alu instid0(VALU_DEP_1) | instskip(NEXT) | instid1(SALU_CYCLE_1)
	s_or_b32 s3, vcc_lo, s3
	s_and_b32 s3, exec_lo, s3
	s_delay_alu instid0(SALU_CYCLE_1) | instskip(NEXT) | instid1(SALU_CYCLE_1)
	s_or_b32 s27, s3, s27
	s_and_not1_b32 exec_lo, exec_lo, s27
	s_cbranch_execz .LBB2_9
.LBB2_7:                                ;   Parent Loop BB2_4 Depth=1
                                        ; =>  This Inner Loop Header: Depth=2
	s_delay_alu instid0(VALU_DEP_1) | instskip(SKIP_2) | instid1(VALU_DEP_2)
	v_ashrrev_i32_e32 v8, 31, v7
	v_ashrrev_i32_e32 v10, 31, v9
	s_mov_b32 s3, exec_lo
	v_lshlrev_b64 v[11:12], 2, v[7:8]
	s_delay_alu instid0(VALU_DEP_2) | instskip(NEXT) | instid1(VALU_DEP_2)
	v_lshlrev_b64 v[13:14], 2, v[9:10]
	v_add_co_u32 v24, vcc_lo, s8, v11
	s_delay_alu instid0(VALU_DEP_3) | instskip(NEXT) | instid1(VALU_DEP_3)
	v_add_co_ci_u32_e32 v25, vcc_lo, s9, v12, vcc_lo
	v_add_co_u32 v26, vcc_lo, s14, v13
	s_delay_alu instid0(VALU_DEP_4)
	v_add_co_ci_u32_e32 v27, vcc_lo, s15, v14, vcc_lo
	global_load_b32 v8, v[24:25], off
	global_load_b32 v10, v[26:27], off
	s_waitcnt vmcnt(0)
	v_cmpx_eq_u32_e64 v8, v10
	s_cbranch_execz .LBB2_6
; %bb.8:                                ;   in Loop: Header=BB2_7 Depth=2
	v_add_co_u32 v13, vcc_lo, s16, v13
	v_add_co_ci_u32_e32 v14, vcc_lo, s17, v14, vcc_lo
	v_add_co_u32 v11, vcc_lo, s18, v11
	v_add_co_ci_u32_e32 v12, vcc_lo, s19, v12, vcc_lo
	global_load_b32 v13, v[13:14], off
	s_waitcnt vmcnt(0)
	v_ashrrev_i32_e32 v14, 31, v13
	s_delay_alu instid0(VALU_DEP_1) | instskip(NEXT) | instid1(VALU_DEP_1)
	v_lshlrev_b64 v[13:14], 2, v[13:14]
	v_add_co_u32 v13, vcc_lo, s18, v13
	s_delay_alu instid0(VALU_DEP_2)
	v_add_co_ci_u32_e32 v14, vcc_lo, s19, v14, vcc_lo
	s_clause 0x1
	global_load_b32 v11, v[11:12], off
	global_load_b32 v12, v[13:14], off
	s_waitcnt vmcnt(0)
	v_fmac_f32_e32 v21, v11, v12
	s_branch .LBB2_6
.LBB2_9:                                ;   in Loop: Header=BB2_4 Depth=1
	s_or_b32 exec_lo, exec_lo, s27
.LBB2_10:                               ;   in Loop: Header=BB2_4 Depth=1
	s_delay_alu instid0(SALU_CYCLE_1)
	s_or_b32 exec_lo, exec_lo, s4
	s_waitcnt vmcnt(1)
	v_sub_f32_e32 v22, v21, v20
	s_mov_b32 s4, exec_lo
	v_cmpx_lt_i32_e64 v9, v23
	s_cbranch_execz .LBB2_18
; %bb.11:                               ;   in Loop: Header=BB2_4 Depth=1
	v_ashrrev_i32_e32 v10, 31, v9
	s_mov_b32 s27, 0
                                        ; implicit-def: $sgpr28
                                        ; implicit-def: $sgpr30
                                        ; implicit-def: $sgpr29
	s_delay_alu instid0(VALU_DEP_1) | instskip(NEXT) | instid1(VALU_DEP_1)
	v_lshlrev_b64 v[11:12], 2, v[9:10]
	v_add_co_u32 v11, vcc_lo, s14, v11
	s_delay_alu instid0(VALU_DEP_2)
	v_add_co_ci_u32_e32 v12, vcc_lo, s15, v12, vcc_lo
	s_set_inst_prefetch_distance 0x1
	s_branch .LBB2_13
	.p2align	6
.LBB2_12:                               ;   in Loop: Header=BB2_13 Depth=2
	s_or_b32 exec_lo, exec_lo, s31
	s_delay_alu instid0(SALU_CYCLE_1) | instskip(NEXT) | instid1(SALU_CYCLE_1)
	s_and_b32 s3, exec_lo, s30
	s_or_b32 s27, s3, s27
	s_and_not1_b32 s3, s28, exec_lo
	s_and_b32 s28, s29, exec_lo
	s_delay_alu instid0(SALU_CYCLE_1)
	s_or_b32 s28, s3, s28
	s_and_not1_b32 exec_lo, exec_lo, s27
	s_cbranch_execz .LBB2_15
.LBB2_13:                               ;   Parent Loop BB2_4 Depth=1
                                        ; =>  This Inner Loop Header: Depth=2
	global_load_b32 v8, v[11:12], off
	v_dual_mov_b32 v14, v10 :: v_dual_mov_b32 v13, v9
	s_or_b32 s29, s29, exec_lo
	s_or_b32 s30, s30, exec_lo
	s_mov_b32 s31, exec_lo
                                        ; implicit-def: $vgpr9_vgpr10
	s_waitcnt vmcnt(0)
	v_subrev_nc_u32_e32 v8, s5, v8
	s_delay_alu instid0(VALU_DEP_1)
	v_cmpx_ne_u32_e64 v8, v1
	s_cbranch_execz .LBB2_12
; %bb.14:                               ;   in Loop: Header=BB2_13 Depth=2
	v_add_co_u32 v9, vcc_lo, v13, 1
	v_add_co_ci_u32_e32 v10, vcc_lo, 0, v14, vcc_lo
	v_add_co_u32 v11, s3, v11, 4
	s_delay_alu instid0(VALU_DEP_3) | instskip(SKIP_4) | instid1(SALU_CYCLE_1)
	v_cmp_ge_i32_e32 vcc_lo, v9, v23
	v_add_co_ci_u32_e64 v12, s3, 0, v12, s3
	s_and_not1_b32 s3, s30, exec_lo
	s_and_not1_b32 s29, s29, exec_lo
	s_and_b32 s30, vcc_lo, exec_lo
	s_or_b32 s30, s3, s30
	s_branch .LBB2_12
.LBB2_15:                               ;   in Loop: Header=BB2_4 Depth=1
	s_set_inst_prefetch_distance 0x2
	s_or_b32 exec_lo, exec_lo, s27
	s_and_saveexec_b32 s3, s28
	s_delay_alu instid0(SALU_CYCLE_1)
	s_xor_b32 s3, exec_lo, s3
	s_cbranch_execz .LBB2_17
; %bb.16:                               ;   in Loop: Header=BB2_4 Depth=1
	v_lshlrev_b64 v[8:9], 2, v[13:14]
	s_delay_alu instid0(VALU_DEP_1) | instskip(NEXT) | instid1(VALU_DEP_2)
	v_add_co_u32 v8, vcc_lo, s16, v8
	v_add_co_ci_u32_e32 v9, vcc_lo, s17, v9, vcc_lo
	global_load_b32 v8, v[8:9], off
	s_waitcnt vmcnt(0)
	v_ashrrev_i32_e32 v9, 31, v8
	s_delay_alu instid0(VALU_DEP_1) | instskip(NEXT) | instid1(VALU_DEP_1)
	v_lshlrev_b64 v[8:9], 2, v[8:9]
	v_add_co_u32 v8, vcc_lo, s18, v8
	s_delay_alu instid0(VALU_DEP_2)
	v_add_co_ci_u32_e32 v9, vcc_lo, s19, v9, vcc_lo
	global_load_b32 v8, v[8:9], off
	s_waitcnt vmcnt(0)
	v_add_f32_e32 v22, v22, v8
.LBB2_17:                               ;   in Loop: Header=BB2_4 Depth=1
	s_or_b32 exec_lo, exec_lo, s3
.LBB2_18:                               ;   in Loop: Header=BB2_4 Depth=1
	s_delay_alu instid0(SALU_CYCLE_1) | instskip(NEXT) | instid1(SALU_CYCLE_1)
	s_or_b32 exec_lo, exec_lo, s4
	s_mov_b32 s4, exec_lo
	v_cmpx_lt_i32_e64 v7, v17
	s_cbranch_execz .LBB2_26
; %bb.19:                               ;   in Loop: Header=BB2_4 Depth=1
	v_ashrrev_i32_e32 v8, 31, v7
	s_mov_b32 s27, 0
                                        ; implicit-def: $sgpr28
                                        ; implicit-def: $sgpr30
                                        ; implicit-def: $sgpr29
	s_delay_alu instid0(VALU_DEP_1) | instskip(NEXT) | instid1(VALU_DEP_1)
	v_lshlrev_b64 v[9:10], 2, v[7:8]
	v_add_co_u32 v9, vcc_lo, s8, v9
	s_delay_alu instid0(VALU_DEP_2)
	v_add_co_ci_u32_e32 v10, vcc_lo, s9, v10, vcc_lo
	s_set_inst_prefetch_distance 0x1
	s_branch .LBB2_21
	.p2align	6
.LBB2_20:                               ;   in Loop: Header=BB2_21 Depth=2
	s_or_b32 exec_lo, exec_lo, s31
	s_delay_alu instid0(SALU_CYCLE_1) | instskip(NEXT) | instid1(SALU_CYCLE_1)
	s_and_b32 s3, exec_lo, s30
	s_or_b32 s27, s3, s27
	s_and_not1_b32 s3, s28, exec_lo
	s_and_b32 s28, s29, exec_lo
	s_delay_alu instid0(SALU_CYCLE_1)
	s_or_b32 s28, s3, s28
	s_and_not1_b32 exec_lo, exec_lo, s27
	s_cbranch_execz .LBB2_23
.LBB2_21:                               ;   Parent Loop BB2_4 Depth=1
                                        ; =>  This Inner Loop Header: Depth=2
	global_load_b32 v13, v[9:10], off
	v_dual_mov_b32 v12, v8 :: v_dual_mov_b32 v11, v7
	s_or_b32 s29, s29, exec_lo
	s_or_b32 s30, s30, exec_lo
	s_mov_b32 s31, exec_lo
                                        ; implicit-def: $vgpr7_vgpr8
	s_waitcnt vmcnt(0)
	v_cmpx_ne_u32_e64 v13, v19
	s_cbranch_execz .LBB2_20
; %bb.22:                               ;   in Loop: Header=BB2_21 Depth=2
	v_add_co_u32 v7, vcc_lo, v11, 1
	v_add_co_ci_u32_e32 v8, vcc_lo, 0, v12, vcc_lo
	v_add_co_u32 v9, s3, v9, 4
	s_delay_alu instid0(VALU_DEP_3) | instskip(SKIP_4) | instid1(SALU_CYCLE_1)
	v_cmp_ge_i32_e32 vcc_lo, v7, v17
	v_add_co_ci_u32_e64 v10, s3, 0, v10, s3
	s_and_not1_b32 s3, s30, exec_lo
	s_and_not1_b32 s29, s29, exec_lo
	s_and_b32 s30, vcc_lo, exec_lo
	s_or_b32 s30, s3, s30
	s_branch .LBB2_20
.LBB2_23:                               ;   in Loop: Header=BB2_4 Depth=1
	s_set_inst_prefetch_distance 0x2
	s_or_b32 exec_lo, exec_lo, s27
	s_and_saveexec_b32 s3, s28
	s_delay_alu instid0(SALU_CYCLE_1)
	s_xor_b32 s3, exec_lo, s3
	s_cbranch_execz .LBB2_25
; %bb.24:                               ;   in Loop: Header=BB2_4 Depth=1
	v_lshlrev_b64 v[7:8], 2, v[11:12]
	s_delay_alu instid0(VALU_DEP_1) | instskip(NEXT) | instid1(VALU_DEP_2)
	v_add_co_u32 v7, vcc_lo, s18, v7
	v_add_co_ci_u32_e32 v8, vcc_lo, s19, v8, vcc_lo
	global_load_b32 v7, v[7:8], off
	s_waitcnt vmcnt(0)
	v_fmac_f32_e32 v22, v7, v4
.LBB2_25:                               ;   in Loop: Header=BB2_4 Depth=1
	s_or_b32 exec_lo, exec_lo, s3
.LBB2_26:                               ;   in Loop: Header=BB2_4 Depth=1
	s_delay_alu instid0(SALU_CYCLE_1) | instskip(SKIP_2) | instid1(VALU_DEP_1)
	s_or_b32 exec_lo, exec_lo, s4
	v_sub_f32_e32 v7, v20, v21
	s_waitcnt vmcnt(0)
	v_div_scale_f32 v8, null, v4, v4, v7
	s_delay_alu instid0(VALU_DEP_1) | instskip(SKIP_2) | instid1(VALU_DEP_1)
	v_rcp_f32_e32 v9, v8
	s_waitcnt_depctr 0xfff
	v_fma_f32 v10, -v8, v9, 1.0
	v_fmac_f32_e32 v9, v10, v9
	v_div_scale_f32 v10, vcc_lo, v7, v4, v7
	s_delay_alu instid0(VALU_DEP_1) | instskip(NEXT) | instid1(VALU_DEP_1)
	v_mul_f32_e32 v11, v10, v9
	v_fma_f32 v12, -v8, v11, v10
	s_delay_alu instid0(VALU_DEP_1) | instskip(NEXT) | instid1(VALU_DEP_1)
	v_fmac_f32_e32 v11, v12, v9
	v_fma_f32 v8, -v8, v11, v10
	s_delay_alu instid0(VALU_DEP_1) | instskip(SKIP_1) | instid1(VALU_DEP_2)
	v_div_fmas_f32 v8, v8, v9, v11
	v_cmp_gt_i32_e32 vcc_lo, v1, v3
	v_div_fixup_f32 v8, v8, v4, v7
	s_delay_alu instid0(VALU_DEP_1) | instskip(NEXT) | instid1(VALU_DEP_1)
	v_cndmask_b32_e32 v7, v7, v8, vcc_lo
	v_cmp_class_f32_e64 s4, v7, 0x1f8
	s_delay_alu instid0(VALU_DEP_1)
	s_and_saveexec_b32 s3, s4
	s_cbranch_execz .LBB2_3
; %bb.27:                               ;   in Loop: Header=BB2_4 Depth=1
	v_add_co_u32 v5, vcc_lo, s18, v5
	v_add_co_ci_u32_e32 v6, vcc_lo, s19, v6, vcc_lo
	global_store_b32 v[5:6], v7, off
	s_branch .LBB2_3
.LBB2_28:
	s_or_b32 exec_lo, exec_lo, s26
.LBB2_29:
	s_delay_alu instid0(SALU_CYCLE_1)
	s_or_b32 exec_lo, exec_lo, s25
.LBB2_30:
	s_delay_alu instid0(SALU_CYCLE_1)
	s_or_b32 exec_lo, exec_lo, s24
	v_lshlrev_b32_e32 v1, 2, v0
	s_mov_b32 s2, exec_lo
	ds_store_b32 v1, v15
	s_waitcnt lgkmcnt(0)
	s_waitcnt_vscnt null, 0x0
	s_barrier
	buffer_gl0_inv
	v_cmpx_gt_u32_e32 0x200, v0
	s_cbranch_execz .LBB2_32
; %bb.31:
	ds_load_2addr_stride64_b32 v[2:3], v1 offset1:8
	s_waitcnt lgkmcnt(0)
	v_cmp_lt_f32_e32 vcc_lo, v2, v3
	v_cndmask_b32_e32 v2, v2, v3, vcc_lo
	ds_store_b32 v1, v2
.LBB2_32:
	s_or_b32 exec_lo, exec_lo, s2
	s_delay_alu instid0(SALU_CYCLE_1)
	s_mov_b32 s2, exec_lo
	s_waitcnt lgkmcnt(0)
	s_barrier
	buffer_gl0_inv
	v_cmpx_gt_u32_e32 0x100, v0
	s_cbranch_execz .LBB2_34
; %bb.33:
	ds_load_2addr_stride64_b32 v[2:3], v1 offset1:4
	s_waitcnt lgkmcnt(0)
	v_cmp_lt_f32_e32 vcc_lo, v2, v3
	v_cndmask_b32_e32 v2, v2, v3, vcc_lo
	ds_store_b32 v1, v2
.LBB2_34:
	s_or_b32 exec_lo, exec_lo, s2
	s_delay_alu instid0(SALU_CYCLE_1)
	s_mov_b32 s2, exec_lo
	s_waitcnt lgkmcnt(0)
	;; [unrolled: 15-line block ×4, first 2 shown]
	s_barrier
	buffer_gl0_inv
	v_cmpx_gt_u32_e32 32, v0
	s_cbranch_execz .LBB2_40
; %bb.39:
	ds_load_2addr_b32 v[2:3], v1 offset1:32
	s_waitcnt lgkmcnt(0)
	v_cmp_lt_f32_e32 vcc_lo, v2, v3
	v_cndmask_b32_e32 v2, v2, v3, vcc_lo
	ds_store_b32 v1, v2
.LBB2_40:
	s_or_b32 exec_lo, exec_lo, s2
	s_delay_alu instid0(SALU_CYCLE_1)
	s_mov_b32 s2, exec_lo
	s_waitcnt lgkmcnt(0)
	s_barrier
	buffer_gl0_inv
	v_cmpx_gt_u32_e32 16, v0
	s_cbranch_execz .LBB2_42
; %bb.41:
	ds_load_2addr_b32 v[2:3], v1 offset1:16
	s_waitcnt lgkmcnt(0)
	v_cmp_lt_f32_e32 vcc_lo, v2, v3
	v_cndmask_b32_e32 v2, v2, v3, vcc_lo
	ds_store_b32 v1, v2
.LBB2_42:
	s_or_b32 exec_lo, exec_lo, s2
	s_delay_alu instid0(SALU_CYCLE_1)
	s_mov_b32 s2, exec_lo
	s_waitcnt lgkmcnt(0)
	;; [unrolled: 15-line block ×4, first 2 shown]
	s_barrier
	buffer_gl0_inv
	v_cmpx_gt_u32_e32 2, v0
	s_cbranch_execz .LBB2_48
; %bb.47:
	ds_load_2addr_b32 v[2:3], v1 offset1:2
	s_waitcnt lgkmcnt(0)
	v_cmp_lt_f32_e32 vcc_lo, v2, v3
	v_cndmask_b32_e32 v2, v2, v3, vcc_lo
	ds_store_b32 v1, v2
.LBB2_48:
	s_or_b32 exec_lo, exec_lo, s2
	v_cmp_eq_u32_e32 vcc_lo, 0, v0
	s_waitcnt lgkmcnt(0)
	s_barrier
	buffer_gl0_inv
	s_and_saveexec_b32 s3, vcc_lo
	s_cbranch_execz .LBB2_50
; %bb.49:
	v_mov_b32_e32 v2, 0
	ds_load_b64 v[0:1], v2
	s_waitcnt lgkmcnt(0)
	v_cmp_lt_f32_e64 s2, v0, v1
	s_delay_alu instid0(VALU_DEP_1)
	v_cndmask_b32_e64 v0, v0, v1, s2
	ds_store_b32 v2, v0
.LBB2_50:
	s_or_b32 exec_lo, exec_lo, s3
	s_waitcnt lgkmcnt(0)
	s_barrier
	buffer_gl0_inv
	s_and_saveexec_b32 s2, vcc_lo
	s_cbranch_execz .LBB2_55
; %bb.51:
	s_load_b128 s[4:7], s[0:1], 0x70
	v_mov_b32_e32 v2, 0
	s_mov_b32 s1, 0
                                        ; implicit-def: $sgpr2
                                        ; implicit-def: $sgpr3
	ds_load_b32 v0, v2
	s_waitcnt lgkmcnt(0)
	s_load_b32 s0, s[6:7], 0x0
	s_waitcnt lgkmcnt(0)
	v_div_scale_f32 v3, null, s0, s0, v0
	v_div_scale_f32 v6, vcc_lo, v0, s0, v0
	s_delay_alu instid0(VALU_DEP_2) | instskip(SKIP_2) | instid1(VALU_DEP_1)
	v_rcp_f32_e32 v4, v3
	s_waitcnt_depctr 0xfff
	v_fma_f32 v5, -v3, v4, 1.0
	v_fmac_f32_e32 v4, v5, v4
	s_delay_alu instid0(VALU_DEP_1) | instskip(SKIP_2) | instid1(VALU_DEP_1)
	v_mul_f32_e32 v5, v6, v4
	global_load_b32 v1, v2, s[4:5] glc
	v_fma_f32 v7, -v3, v5, v6
	v_fmac_f32_e32 v5, v7, v4
	s_delay_alu instid0(VALU_DEP_1) | instskip(NEXT) | instid1(VALU_DEP_1)
	v_fma_f32 v3, -v3, v5, v6
	v_div_fmas_f32 v3, v3, v4, v5
	s_delay_alu instid0(VALU_DEP_1) | instskip(NEXT) | instid1(VALU_DEP_1)
	v_div_fixup_f32 v0, v3, s0, v0
	v_cmp_eq_f32_e32 vcc_lo, 0, v0
	s_waitcnt vmcnt(0)
	v_cmp_eq_u32_e64 s6, 0x80000000, v1
	s_set_inst_prefetch_distance 0x1
	s_branch .LBB2_53
	.p2align	6
.LBB2_52:                               ;   in Loop: Header=BB2_53 Depth=1
	s_or_b32 exec_lo, exec_lo, s7
	s_delay_alu instid0(SALU_CYCLE_1) | instskip(NEXT) | instid1(SALU_CYCLE_1)
	s_and_b32 s0, exec_lo, s2
	s_or_b32 s1, s0, s1
	s_and_not1_b32 s0, s6, exec_lo
	s_and_b32 s6, s3, exec_lo
	s_delay_alu instid0(SALU_CYCLE_1)
	s_or_b32 s6, s0, s6
	s_and_not1_b32 exec_lo, exec_lo, s1
	s_cbranch_execz .LBB2_55
.LBB2_53:                               ; =>This Inner Loop Header: Depth=1
	v_cmp_lt_f32_e64 s0, v1, v0
	s_delay_alu instid0(VALU_DEP_2) | instskip(SKIP_2) | instid1(VALU_DEP_1)
	s_and_b32 s7, vcc_lo, s6
	s_and_not1_b32 s3, s3, exec_lo
	s_or_b32 s2, s2, exec_lo
	s_or_b32 s0, s0, s7
	s_delay_alu instid0(SALU_CYCLE_1)
	s_and_saveexec_b32 s7, s0
	s_cbranch_execz .LBB2_52
; %bb.54:                               ;   in Loop: Header=BB2_53 Depth=1
	global_atomic_cmpswap_b32 v3, v2, v[0:1], s[4:5] glc
	s_and_not1_b32 s3, s3, exec_lo
	s_and_not1_b32 s2, s2, exec_lo
	s_waitcnt vmcnt(0)
	v_cmp_eq_u32_e64 s0, v3, v1
	s_delay_alu instid0(VALU_DEP_1) | instskip(SKIP_1) | instid1(SALU_CYCLE_1)
	v_cndmask_b32_e64 v1, v3, v1, s0
	s_and_b32 s0, s0, exec_lo
	s_or_b32 s2, s2, s0
	s_delay_alu instid0(VALU_DEP_1) | instskip(SKIP_1) | instid1(VALU_DEP_2)
	v_cmp_class_f32_e64 s6, v1, 32
	v_mov_b32_e32 v1, v3
	s_and_b32 s6, s6, exec_lo
	s_delay_alu instid0(SALU_CYCLE_1)
	s_or_b32 s3, s3, s6
                                        ; implicit-def: $sgpr6
	s_branch .LBB2_52
.LBB2_55:
	s_set_inst_prefetch_distance 0x2
	s_endpgm
	.section	.rodata,"a",@progbits
	.p2align	6, 0x0
	.amdhsa_kernel _ZN9rocsparseL16kernel_calculateILi1024ELi1ELb1EfiiEEvT4_T3_PKS2_S4_PKS1_PKT2_21rocsparse_index_base_S4_S4_S6_S4_S4_S6_S4_PS7_PNS_15floating_traitsIS7_E6data_tEPKSE_
		.amdhsa_group_segment_fixed_size 4096
		.amdhsa_private_segment_fixed_size 0
		.amdhsa_kernarg_size 128
		.amdhsa_user_sgpr_count 15
		.amdhsa_user_sgpr_dispatch_ptr 0
		.amdhsa_user_sgpr_queue_ptr 0
		.amdhsa_user_sgpr_kernarg_segment_ptr 1
		.amdhsa_user_sgpr_dispatch_id 0
		.amdhsa_user_sgpr_private_segment_size 0
		.amdhsa_wavefront_size32 1
		.amdhsa_uses_dynamic_stack 0
		.amdhsa_enable_private_segment 0
		.amdhsa_system_sgpr_workgroup_id_x 1
		.amdhsa_system_sgpr_workgroup_id_y 0
		.amdhsa_system_sgpr_workgroup_id_z 0
		.amdhsa_system_sgpr_workgroup_info 0
		.amdhsa_system_vgpr_workitem_id 0
		.amdhsa_next_free_vgpr 28
		.amdhsa_next_free_sgpr 32
		.amdhsa_reserve_vcc 1
		.amdhsa_float_round_mode_32 0
		.amdhsa_float_round_mode_16_64 0
		.amdhsa_float_denorm_mode_32 3
		.amdhsa_float_denorm_mode_16_64 3
		.amdhsa_dx10_clamp 1
		.amdhsa_ieee_mode 1
		.amdhsa_fp16_overflow 0
		.amdhsa_workgroup_processor_mode 1
		.amdhsa_memory_ordered 1
		.amdhsa_forward_progress 0
		.amdhsa_shared_vgpr_count 0
		.amdhsa_exception_fp_ieee_invalid_op 0
		.amdhsa_exception_fp_denorm_src 0
		.amdhsa_exception_fp_ieee_div_zero 0
		.amdhsa_exception_fp_ieee_overflow 0
		.amdhsa_exception_fp_ieee_underflow 0
		.amdhsa_exception_fp_ieee_inexact 0
		.amdhsa_exception_int_div_zero 0
	.end_amdhsa_kernel
	.section	.text._ZN9rocsparseL16kernel_calculateILi1024ELi1ELb1EfiiEEvT4_T3_PKS2_S4_PKS1_PKT2_21rocsparse_index_base_S4_S4_S6_S4_S4_S6_S4_PS7_PNS_15floating_traitsIS7_E6data_tEPKSE_,"axG",@progbits,_ZN9rocsparseL16kernel_calculateILi1024ELi1ELb1EfiiEEvT4_T3_PKS2_S4_PKS1_PKT2_21rocsparse_index_base_S4_S4_S6_S4_S4_S6_S4_PS7_PNS_15floating_traitsIS7_E6data_tEPKSE_,comdat
.Lfunc_end2:
	.size	_ZN9rocsparseL16kernel_calculateILi1024ELi1ELb1EfiiEEvT4_T3_PKS2_S4_PKS1_PKT2_21rocsparse_index_base_S4_S4_S6_S4_S4_S6_S4_PS7_PNS_15floating_traitsIS7_E6data_tEPKSE_, .Lfunc_end2-_ZN9rocsparseL16kernel_calculateILi1024ELi1ELb1EfiiEEvT4_T3_PKS2_S4_PKS1_PKT2_21rocsparse_index_base_S4_S4_S6_S4_S4_S6_S4_PS7_PNS_15floating_traitsIS7_E6data_tEPKSE_
                                        ; -- End function
	.section	.AMDGPU.csdata,"",@progbits
; Kernel info:
; codeLenInByte = 2712
; NumSgprs: 34
; NumVgprs: 28
; ScratchSize: 0
; MemoryBound: 0
; FloatMode: 240
; IeeeMode: 1
; LDSByteSize: 4096 bytes/workgroup (compile time only)
; SGPRBlocks: 4
; VGPRBlocks: 3
; NumSGPRsForWavesPerEU: 34
; NumVGPRsForWavesPerEU: 28
; Occupancy: 16
; WaveLimiterHint : 1
; COMPUTE_PGM_RSRC2:SCRATCH_EN: 0
; COMPUTE_PGM_RSRC2:USER_SGPR: 15
; COMPUTE_PGM_RSRC2:TRAP_HANDLER: 0
; COMPUTE_PGM_RSRC2:TGID_X_EN: 1
; COMPUTE_PGM_RSRC2:TGID_Y_EN: 0
; COMPUTE_PGM_RSRC2:TGID_Z_EN: 0
; COMPUTE_PGM_RSRC2:TIDIG_COMP_CNT: 0
	.section	.text._ZN9rocsparseL16kernel_calculateILi1024ELi2ELb1EfiiEEvT4_T3_PKS2_S4_PKS1_PKT2_21rocsparse_index_base_S4_S4_S6_S4_S4_S6_S4_PS7_PNS_15floating_traitsIS7_E6data_tEPKSE_,"axG",@progbits,_ZN9rocsparseL16kernel_calculateILi1024ELi2ELb1EfiiEEvT4_T3_PKS2_S4_PKS1_PKT2_21rocsparse_index_base_S4_S4_S6_S4_S4_S6_S4_PS7_PNS_15floating_traitsIS7_E6data_tEPKSE_,comdat
	.globl	_ZN9rocsparseL16kernel_calculateILi1024ELi2ELb1EfiiEEvT4_T3_PKS2_S4_PKS1_PKT2_21rocsparse_index_base_S4_S4_S6_S4_S4_S6_S4_PS7_PNS_15floating_traitsIS7_E6data_tEPKSE_ ; -- Begin function _ZN9rocsparseL16kernel_calculateILi1024ELi2ELb1EfiiEEvT4_T3_PKS2_S4_PKS1_PKT2_21rocsparse_index_base_S4_S4_S6_S4_S4_S6_S4_PS7_PNS_15floating_traitsIS7_E6data_tEPKSE_
	.p2align	8
	.type	_ZN9rocsparseL16kernel_calculateILi1024ELi2ELb1EfiiEEvT4_T3_PKS2_S4_PKS1_PKT2_21rocsparse_index_base_S4_S4_S6_S4_S4_S6_S4_PS7_PNS_15floating_traitsIS7_E6data_tEPKSE_,@function
_ZN9rocsparseL16kernel_calculateILi1024ELi2ELb1EfiiEEvT4_T3_PKS2_S4_PKS1_PKT2_21rocsparse_index_base_S4_S4_S6_S4_S4_S6_S4_PS7_PNS_15floating_traitsIS7_E6data_tEPKSE_: ; @_ZN9rocsparseL16kernel_calculateILi1024ELi2ELb1EfiiEEvT4_T3_PKS2_S4_PKS1_PKT2_21rocsparse_index_base_S4_S4_S6_S4_S4_S6_S4_PS7_PNS_15floating_traitsIS7_E6data_tEPKSE_
; %bb.0:
	s_load_b32 s29, s[0:1], 0x0
	v_lshrrev_b32_e32 v21, 1, v0
	v_dual_mov_b32 v23, 0 :: v_dual_and_b32 v22, 1, v0
	s_mov_b32 s28, exec_lo
	s_delay_alu instid0(VALU_DEP_2) | instskip(SKIP_1) | instid1(VALU_DEP_1)
	v_lshl_or_b32 v1, s15, 10, v21
	s_waitcnt lgkmcnt(0)
	v_cmpx_gt_i32_e64 s29, v1
	s_cbranch_execz .LBB3_60
; %bb.1:
	s_load_b256 s[4:11], s[0:1], 0x8
	v_ashrrev_i32_e32 v2, 31, v1
	v_mov_b32_e32 v23, 0
	s_delay_alu instid0(VALU_DEP_2) | instskip(SKIP_1) | instid1(VALU_DEP_1)
	v_lshlrev_b64 v[2:3], 2, v[1:2]
	s_waitcnt lgkmcnt(0)
	v_add_co_u32 v4, vcc_lo, s6, v2
	s_delay_alu instid0(VALU_DEP_2)
	v_add_co_ci_u32_e32 v5, vcc_lo, s7, v3, vcc_lo
	v_add_co_u32 v6, vcc_lo, s4, v2
	v_add_co_ci_u32_e32 v7, vcc_lo, s5, v3, vcc_lo
	global_load_b32 v8, v[4:5], off
	global_load_b32 v9, v[6:7], off
	s_clause 0x2
	s_load_b32 s5, s[0:1], 0x28
	s_load_b256 s[12:19], s[0:1], 0x50
	s_load_b256 s[20:27], s[0:1], 0x30
	s_mov_b32 s6, exec_lo
	s_waitcnt lgkmcnt(0)
	v_subrev_nc_u32_e32 v24, s5, v22
	s_waitcnt vmcnt(1)
	v_subrev_nc_u32_e32 v25, s5, v8
	s_waitcnt vmcnt(0)
	s_delay_alu instid0(VALU_DEP_2) | instskip(NEXT) | instid1(VALU_DEP_1)
	v_add_nc_u32_e32 v8, v24, v9
	v_cmpx_lt_i32_e64 v8, v25
	s_cbranch_execz .LBB3_29
; %bb.2:
	v_add_co_u32 v9, vcc_lo, s22, v2
	v_add_co_ci_u32_e32 v10, vcc_lo, s23, v3, vcc_lo
	v_add_co_u32 v11, vcc_lo, s20, v2
	v_add_co_ci_u32_e32 v12, vcc_lo, s21, v3, vcc_lo
	v_mov_b32_e32 v23, 0
	global_load_b32 v9, v[9:10], off
	global_load_b32 v10, v[11:12], off
	s_mov_b32 s7, 0
	s_waitcnt vmcnt(1)
	v_subrev_nc_u32_e32 v26, s5, v9
	s_waitcnt vmcnt(0)
	v_subrev_nc_u32_e32 v27, s5, v10
	v_cmp_lt_i32_e64 s2, v10, v9
	s_branch .LBB3_4
.LBB3_3:                                ;   in Loop: Header=BB3_4 Depth=1
	s_or_b32 exec_lo, exec_lo, s3
	v_add_f32_e32 v10, v10, v31
	v_cmp_eq_u32_e32 vcc_lo, v1, v9
	s_delay_alu instid0(VALU_DEP_2) | instskip(NEXT) | instid1(VALU_DEP_1)
	v_dual_cndmask_b32 v9, v31, v10 :: v_dual_add_nc_u32 v8, 2, v8
	v_cmp_ge_i32_e64 s4, v8, v25
	s_delay_alu instid0(VALU_DEP_2) | instskip(NEXT) | instid1(VALU_DEP_1)
	v_and_b32_e32 v9, 0x7fffffff, v9
	v_cmp_nlg_f32_e32 vcc_lo, 0x7f800000, v9
	v_cmp_gt_f32_e64 s3, v23, v9
	s_delay_alu instid0(VALU_DEP_1)
	s_or_b32 vcc_lo, vcc_lo, s3
	s_or_b32 s7, s4, s7
	v_cndmask_b32_e32 v23, v9, v23, vcc_lo
	s_and_not1_b32 exec_lo, exec_lo, s7
	s_cbranch_execz .LBB3_28
.LBB3_4:                                ; =>This Loop Header: Depth=1
                                        ;     Child Loop BB3_7 Depth 2
                                        ;     Child Loop BB3_13 Depth 2
	;; [unrolled: 1-line block ×3, first 2 shown]
	v_ashrrev_i32_e32 v9, 31, v8
	v_mov_b32_e32 v30, 0
	s_delay_alu instid0(VALU_DEP_2) | instskip(NEXT) | instid1(VALU_DEP_1)
	v_lshlrev_b64 v[11:12], 2, v[8:9]
	v_add_co_u32 v9, vcc_lo, s8, v11
	s_delay_alu instid0(VALU_DEP_2) | instskip(SKIP_3) | instid1(VALU_DEP_1)
	v_add_co_ci_u32_e32 v10, vcc_lo, s9, v12, vcc_lo
	global_load_b32 v28, v[9:10], off
	s_waitcnt vmcnt(0)
	v_subrev_nc_u32_e32 v9, s5, v28
	v_ashrrev_i32_e32 v10, 31, v9
	s_delay_alu instid0(VALU_DEP_1) | instskip(NEXT) | instid1(VALU_DEP_1)
	v_lshlrev_b64 v[13:14], 2, v[9:10]
	v_add_co_u32 v15, vcc_lo, s22, v13
	s_delay_alu instid0(VALU_DEP_2)
	v_add_co_ci_u32_e32 v16, vcc_lo, s23, v14, vcc_lo
	v_add_co_u32 v17, vcc_lo, s12, v13
	v_add_co_ci_u32_e32 v18, vcc_lo, s13, v14, vcc_lo
	global_load_b32 v10, v[15:16], off
	v_add_co_u32 v13, vcc_lo, s26, v13
	v_add_co_ci_u32_e32 v14, vcc_lo, s27, v14, vcc_lo
	v_add_co_u32 v19, vcc_lo, s10, v11
	v_add_co_ci_u32_e32 v20, vcc_lo, s11, v12, vcc_lo
	global_load_b32 v17, v[17:18], off
	global_load_b32 v18, v[13:14], off
	s_waitcnt vmcnt(2)
	v_subrev_nc_u32_e32 v15, s5, v10
	s_delay_alu instid0(VALU_DEP_1) | instskip(SKIP_2) | instid1(VALU_DEP_2)
	v_ashrrev_i32_e32 v16, 31, v15
	s_waitcnt vmcnt(1)
	v_subrev_nc_u32_e32 v32, s5, v17
	v_lshlrev_b64 v[15:16], 2, v[15:16]
	s_delay_alu instid0(VALU_DEP_1) | instskip(NEXT) | instid1(VALU_DEP_2)
	v_add_co_u32 v13, vcc_lo, s18, v15
	v_add_co_ci_u32_e32 v14, vcc_lo, s19, v16, vcc_lo
	global_load_b32 v29, v[19:20], off
	global_load_b32 v10, v[13:14], off
	s_waitcnt vmcnt(2)
	v_cmp_lt_i32_e32 vcc_lo, v18, v17
	v_subrev_nc_u32_e32 v15, s5, v18
	v_mov_b32_e32 v13, v27
	s_and_b32 s3, s2, vcc_lo
	s_delay_alu instid0(SALU_CYCLE_1)
	s_and_saveexec_b32 s4, s3
	s_cbranch_execz .LBB3_10
; %bb.5:                                ;   in Loop: Header=BB3_4 Depth=1
	v_dual_mov_b32 v30, 0 :: v_dual_mov_b32 v13, v27
	s_mov_b32 s30, 0
	s_branch .LBB3_7
.LBB3_6:                                ;   in Loop: Header=BB3_7 Depth=2
	s_or_b32 exec_lo, exec_lo, s3
	v_cmp_le_i32_e32 vcc_lo, v14, v16
	v_add_co_ci_u32_e32 v13, vcc_lo, 0, v13, vcc_lo
	v_cmp_ge_i32_e32 vcc_lo, v14, v16
	v_add_co_ci_u32_e32 v15, vcc_lo, 0, v15, vcc_lo
	s_delay_alu instid0(VALU_DEP_3) | instskip(NEXT) | instid1(VALU_DEP_2)
	v_cmp_ge_i32_e32 vcc_lo, v13, v26
	v_cmp_ge_i32_e64 s3, v15, v32
	s_delay_alu instid0(VALU_DEP_1) | instskip(NEXT) | instid1(SALU_CYCLE_1)
	s_or_b32 s3, vcc_lo, s3
	s_and_b32 s3, exec_lo, s3
	s_delay_alu instid0(SALU_CYCLE_1) | instskip(NEXT) | instid1(SALU_CYCLE_1)
	s_or_b32 s30, s3, s30
	s_and_not1_b32 exec_lo, exec_lo, s30
	s_cbranch_execz .LBB3_9
.LBB3_7:                                ;   Parent Loop BB3_4 Depth=1
                                        ; =>  This Inner Loop Header: Depth=2
	s_delay_alu instid0(VALU_DEP_1) | instskip(SKIP_2) | instid1(VALU_DEP_2)
	v_ashrrev_i32_e32 v14, 31, v13
	v_ashrrev_i32_e32 v16, 31, v15
	s_mov_b32 s3, exec_lo
	v_lshlrev_b64 v[17:18], 2, v[13:14]
	s_delay_alu instid0(VALU_DEP_2) | instskip(NEXT) | instid1(VALU_DEP_2)
	v_lshlrev_b64 v[19:20], 2, v[15:16]
	v_add_co_u32 v33, vcc_lo, s24, v17
	s_delay_alu instid0(VALU_DEP_3) | instskip(NEXT) | instid1(VALU_DEP_3)
	v_add_co_ci_u32_e32 v34, vcc_lo, s25, v18, vcc_lo
	v_add_co_u32 v35, vcc_lo, s14, v19
	s_delay_alu instid0(VALU_DEP_4)
	v_add_co_ci_u32_e32 v36, vcc_lo, s15, v20, vcc_lo
	global_load_b32 v14, v[33:34], off
	global_load_b32 v16, v[35:36], off
	s_waitcnt vmcnt(0)
	v_cmpx_eq_u32_e64 v14, v16
	s_cbranch_execz .LBB3_6
; %bb.8:                                ;   in Loop: Header=BB3_7 Depth=2
	v_add_co_u32 v19, vcc_lo, s16, v19
	v_add_co_ci_u32_e32 v20, vcc_lo, s17, v20, vcc_lo
	v_add_co_u32 v17, vcc_lo, s18, v17
	v_add_co_ci_u32_e32 v18, vcc_lo, s19, v18, vcc_lo
	global_load_b32 v19, v[19:20], off
	s_waitcnt vmcnt(0)
	v_ashrrev_i32_e32 v20, 31, v19
	s_delay_alu instid0(VALU_DEP_1) | instskip(NEXT) | instid1(VALU_DEP_1)
	v_lshlrev_b64 v[19:20], 2, v[19:20]
	v_add_co_u32 v19, vcc_lo, s18, v19
	s_delay_alu instid0(VALU_DEP_2)
	v_add_co_ci_u32_e32 v20, vcc_lo, s19, v20, vcc_lo
	s_clause 0x1
	global_load_b32 v17, v[17:18], off
	global_load_b32 v18, v[19:20], off
	s_waitcnt vmcnt(0)
	v_fmac_f32_e32 v30, v17, v18
	s_branch .LBB3_6
.LBB3_9:                                ;   in Loop: Header=BB3_4 Depth=1
	s_or_b32 exec_lo, exec_lo, s30
.LBB3_10:                               ;   in Loop: Header=BB3_4 Depth=1
	s_delay_alu instid0(SALU_CYCLE_1)
	s_or_b32 exec_lo, exec_lo, s4
	s_waitcnt vmcnt(1)
	v_sub_f32_e32 v31, v30, v29
	s_mov_b32 s4, exec_lo
	v_cmpx_lt_i32_e64 v15, v32
	s_cbranch_execz .LBB3_18
; %bb.11:                               ;   in Loop: Header=BB3_4 Depth=1
	v_ashrrev_i32_e32 v16, 31, v15
	s_mov_b32 s30, 0
                                        ; implicit-def: $sgpr31
                                        ; implicit-def: $sgpr34
                                        ; implicit-def: $sgpr33
	s_delay_alu instid0(VALU_DEP_1) | instskip(NEXT) | instid1(VALU_DEP_1)
	v_lshlrev_b64 v[17:18], 2, v[15:16]
	v_add_co_u32 v17, vcc_lo, s14, v17
	s_delay_alu instid0(VALU_DEP_2)
	v_add_co_ci_u32_e32 v18, vcc_lo, s15, v18, vcc_lo
	s_set_inst_prefetch_distance 0x1
	s_branch .LBB3_13
	.p2align	6
.LBB3_12:                               ;   in Loop: Header=BB3_13 Depth=2
	s_or_b32 exec_lo, exec_lo, s35
	s_delay_alu instid0(SALU_CYCLE_1) | instskip(NEXT) | instid1(SALU_CYCLE_1)
	s_and_b32 s3, exec_lo, s34
	s_or_b32 s30, s3, s30
	s_and_not1_b32 s3, s31, exec_lo
	s_and_b32 s31, s33, exec_lo
	s_delay_alu instid0(SALU_CYCLE_1)
	s_or_b32 s31, s3, s31
	s_and_not1_b32 exec_lo, exec_lo, s30
	s_cbranch_execz .LBB3_15
.LBB3_13:                               ;   Parent Loop BB3_4 Depth=1
                                        ; =>  This Inner Loop Header: Depth=2
	global_load_b32 v14, v[17:18], off
	v_dual_mov_b32 v20, v16 :: v_dual_mov_b32 v19, v15
	s_or_b32 s33, s33, exec_lo
	s_or_b32 s34, s34, exec_lo
	s_mov_b32 s35, exec_lo
                                        ; implicit-def: $vgpr15_vgpr16
	s_waitcnt vmcnt(0)
	v_subrev_nc_u32_e32 v14, s5, v14
	s_delay_alu instid0(VALU_DEP_1)
	v_cmpx_ne_u32_e64 v14, v1
	s_cbranch_execz .LBB3_12
; %bb.14:                               ;   in Loop: Header=BB3_13 Depth=2
	v_add_co_u32 v15, vcc_lo, v19, 1
	v_add_co_ci_u32_e32 v16, vcc_lo, 0, v20, vcc_lo
	v_add_co_u32 v17, s3, v17, 4
	s_delay_alu instid0(VALU_DEP_3) | instskip(SKIP_4) | instid1(SALU_CYCLE_1)
	v_cmp_ge_i32_e32 vcc_lo, v15, v32
	v_add_co_ci_u32_e64 v18, s3, 0, v18, s3
	s_and_not1_b32 s3, s34, exec_lo
	s_and_not1_b32 s33, s33, exec_lo
	s_and_b32 s34, vcc_lo, exec_lo
	s_or_b32 s34, s3, s34
	s_branch .LBB3_12
.LBB3_15:                               ;   in Loop: Header=BB3_4 Depth=1
	s_set_inst_prefetch_distance 0x2
	s_or_b32 exec_lo, exec_lo, s30
	s_and_saveexec_b32 s3, s31
	s_delay_alu instid0(SALU_CYCLE_1)
	s_xor_b32 s3, exec_lo, s3
	s_cbranch_execz .LBB3_17
; %bb.16:                               ;   in Loop: Header=BB3_4 Depth=1
	v_lshlrev_b64 v[14:15], 2, v[19:20]
	s_delay_alu instid0(VALU_DEP_1) | instskip(NEXT) | instid1(VALU_DEP_2)
	v_add_co_u32 v14, vcc_lo, s16, v14
	v_add_co_ci_u32_e32 v15, vcc_lo, s17, v15, vcc_lo
	global_load_b32 v14, v[14:15], off
	s_waitcnt vmcnt(0)
	v_ashrrev_i32_e32 v15, 31, v14
	s_delay_alu instid0(VALU_DEP_1) | instskip(NEXT) | instid1(VALU_DEP_1)
	v_lshlrev_b64 v[14:15], 2, v[14:15]
	v_add_co_u32 v14, vcc_lo, s18, v14
	s_delay_alu instid0(VALU_DEP_2)
	v_add_co_ci_u32_e32 v15, vcc_lo, s19, v15, vcc_lo
	global_load_b32 v14, v[14:15], off
	s_waitcnt vmcnt(0)
	v_add_f32_e32 v31, v31, v14
.LBB3_17:                               ;   in Loop: Header=BB3_4 Depth=1
	s_or_b32 exec_lo, exec_lo, s3
.LBB3_18:                               ;   in Loop: Header=BB3_4 Depth=1
	s_delay_alu instid0(SALU_CYCLE_1) | instskip(NEXT) | instid1(SALU_CYCLE_1)
	s_or_b32 exec_lo, exec_lo, s4
	s_mov_b32 s4, exec_lo
	v_cmpx_lt_i32_e64 v13, v26
	s_cbranch_execz .LBB3_26
; %bb.19:                               ;   in Loop: Header=BB3_4 Depth=1
	v_ashrrev_i32_e32 v14, 31, v13
	s_mov_b32 s30, 0
                                        ; implicit-def: $sgpr31
                                        ; implicit-def: $sgpr34
                                        ; implicit-def: $sgpr33
	s_delay_alu instid0(VALU_DEP_1) | instskip(NEXT) | instid1(VALU_DEP_1)
	v_lshlrev_b64 v[15:16], 2, v[13:14]
	v_add_co_u32 v15, vcc_lo, s24, v15
	s_delay_alu instid0(VALU_DEP_2)
	v_add_co_ci_u32_e32 v16, vcc_lo, s25, v16, vcc_lo
	s_set_inst_prefetch_distance 0x1
	s_branch .LBB3_21
	.p2align	6
.LBB3_20:                               ;   in Loop: Header=BB3_21 Depth=2
	s_or_b32 exec_lo, exec_lo, s35
	s_delay_alu instid0(SALU_CYCLE_1) | instskip(NEXT) | instid1(SALU_CYCLE_1)
	s_and_b32 s3, exec_lo, s34
	s_or_b32 s30, s3, s30
	s_and_not1_b32 s3, s31, exec_lo
	s_and_b32 s31, s33, exec_lo
	s_delay_alu instid0(SALU_CYCLE_1)
	s_or_b32 s31, s3, s31
	s_and_not1_b32 exec_lo, exec_lo, s30
	s_cbranch_execz .LBB3_23
.LBB3_21:                               ;   Parent Loop BB3_4 Depth=1
                                        ; =>  This Inner Loop Header: Depth=2
	global_load_b32 v19, v[15:16], off
	v_dual_mov_b32 v18, v14 :: v_dual_mov_b32 v17, v13
	s_or_b32 s33, s33, exec_lo
	s_or_b32 s34, s34, exec_lo
	s_mov_b32 s35, exec_lo
                                        ; implicit-def: $vgpr13_vgpr14
	s_waitcnt vmcnt(0)
	v_cmpx_ne_u32_e64 v19, v28
	s_cbranch_execz .LBB3_20
; %bb.22:                               ;   in Loop: Header=BB3_21 Depth=2
	v_add_co_u32 v13, vcc_lo, v17, 1
	v_add_co_ci_u32_e32 v14, vcc_lo, 0, v18, vcc_lo
	v_add_co_u32 v15, s3, v15, 4
	s_delay_alu instid0(VALU_DEP_3) | instskip(SKIP_4) | instid1(SALU_CYCLE_1)
	v_cmp_ge_i32_e32 vcc_lo, v13, v26
	v_add_co_ci_u32_e64 v16, s3, 0, v16, s3
	s_and_not1_b32 s3, s34, exec_lo
	s_and_not1_b32 s33, s33, exec_lo
	s_and_b32 s34, vcc_lo, exec_lo
	s_or_b32 s34, s3, s34
	s_branch .LBB3_20
.LBB3_23:                               ;   in Loop: Header=BB3_4 Depth=1
	s_set_inst_prefetch_distance 0x2
	s_or_b32 exec_lo, exec_lo, s30
	s_and_saveexec_b32 s3, s31
	s_delay_alu instid0(SALU_CYCLE_1)
	s_xor_b32 s3, exec_lo, s3
	s_cbranch_execz .LBB3_25
; %bb.24:                               ;   in Loop: Header=BB3_4 Depth=1
	v_lshlrev_b64 v[13:14], 2, v[17:18]
	s_delay_alu instid0(VALU_DEP_1) | instskip(NEXT) | instid1(VALU_DEP_2)
	v_add_co_u32 v13, vcc_lo, s18, v13
	v_add_co_ci_u32_e32 v14, vcc_lo, s19, v14, vcc_lo
	global_load_b32 v13, v[13:14], off
	s_waitcnt vmcnt(0)
	v_fmac_f32_e32 v31, v13, v10
.LBB3_25:                               ;   in Loop: Header=BB3_4 Depth=1
	s_or_b32 exec_lo, exec_lo, s3
.LBB3_26:                               ;   in Loop: Header=BB3_4 Depth=1
	s_delay_alu instid0(SALU_CYCLE_1) | instskip(SKIP_2) | instid1(VALU_DEP_1)
	s_or_b32 exec_lo, exec_lo, s4
	v_sub_f32_e32 v13, v29, v30
	s_waitcnt vmcnt(0)
	v_div_scale_f32 v14, null, v10, v10, v13
	s_delay_alu instid0(VALU_DEP_1) | instskip(SKIP_2) | instid1(VALU_DEP_1)
	v_rcp_f32_e32 v15, v14
	s_waitcnt_depctr 0xfff
	v_fma_f32 v16, -v14, v15, 1.0
	v_fmac_f32_e32 v15, v16, v15
	v_div_scale_f32 v16, vcc_lo, v13, v10, v13
	s_delay_alu instid0(VALU_DEP_1) | instskip(NEXT) | instid1(VALU_DEP_1)
	v_mul_f32_e32 v17, v16, v15
	v_fma_f32 v18, -v14, v17, v16
	s_delay_alu instid0(VALU_DEP_1) | instskip(NEXT) | instid1(VALU_DEP_1)
	v_fmac_f32_e32 v17, v18, v15
	v_fma_f32 v14, -v14, v17, v16
	s_delay_alu instid0(VALU_DEP_1) | instskip(SKIP_1) | instid1(VALU_DEP_2)
	v_div_fmas_f32 v14, v14, v15, v17
	v_cmp_gt_i32_e32 vcc_lo, v1, v9
	v_div_fixup_f32 v14, v14, v10, v13
	s_delay_alu instid0(VALU_DEP_1) | instskip(NEXT) | instid1(VALU_DEP_1)
	v_cndmask_b32_e32 v13, v13, v14, vcc_lo
	v_cmp_class_f32_e64 s4, v13, 0x1f8
	s_delay_alu instid0(VALU_DEP_1)
	s_and_saveexec_b32 s3, s4
	s_cbranch_execz .LBB3_3
; %bb.27:                               ;   in Loop: Header=BB3_4 Depth=1
	v_add_co_u32 v11, vcc_lo, s18, v11
	v_add_co_ci_u32_e32 v12, vcc_lo, s19, v12, vcc_lo
	global_store_b32 v[11:12], v13, off
	s_branch .LBB3_3
.LBB3_28:
	s_or_b32 exec_lo, exec_lo, s7
.LBB3_29:
	s_delay_alu instid0(SALU_CYCLE_1) | instskip(SKIP_2) | instid1(VALU_DEP_1)
	s_or_b32 exec_lo, exec_lo, s6
	v_or_b32_e32 v14, 0x200, v1
	s_mov_b32 s6, exec_lo
	v_cmpx_gt_i32_e64 s29, v14
	s_cbranch_execz .LBB3_59
; %bb.30:
	global_load_b32 v1, v[4:5], off offset:2048
	global_load_b32 v4, v[6:7], off offset:2048
	s_mov_b32 s7, exec_lo
	s_waitcnt vmcnt(1)
	v_subrev_nc_u32_e32 v15, s5, v1
	s_waitcnt vmcnt(0)
	v_add_nc_u32_e32 v1, v24, v4
	s_delay_alu instid0(VALU_DEP_1)
	v_cmpx_lt_i32_e64 v1, v15
	s_cbranch_execz .LBB3_58
; %bb.31:
	v_add_co_u32 v4, vcc_lo, s22, v2
	v_add_co_ci_u32_e32 v5, vcc_lo, s23, v3, vcc_lo
	v_add_co_u32 v2, vcc_lo, s20, v2
	v_add_co_ci_u32_e32 v3, vcc_lo, s21, v3, vcc_lo
	s_mov_b32 s20, 0
	global_load_b32 v4, v[4:5], off offset:2048
	global_load_b32 v2, v[2:3], off offset:2048
	s_waitcnt vmcnt(1)
	v_subrev_nc_u32_e32 v16, s5, v4
	s_waitcnt vmcnt(0)
	v_subrev_nc_u32_e32 v17, s5, v2
	v_cmp_lt_i32_e64 s2, v2, v4
	s_branch .LBB3_33
.LBB3_32:                               ;   in Loop: Header=BB3_33 Depth=1
	s_or_b32 exec_lo, exec_lo, s3
	v_add_f32_e32 v3, v3, v24
	v_cmp_eq_u32_e32 vcc_lo, v14, v2
	s_delay_alu instid0(VALU_DEP_2) | instskip(NEXT) | instid1(VALU_DEP_1)
	v_dual_cndmask_b32 v2, v24, v3 :: v_dual_add_nc_u32 v1, 2, v1
	v_cmp_ge_i32_e64 s4, v1, v15
	s_delay_alu instid0(VALU_DEP_2) | instskip(NEXT) | instid1(VALU_DEP_1)
	v_and_b32_e32 v2, 0x7fffffff, v2
	v_cmp_nlg_f32_e32 vcc_lo, 0x7f800000, v2
	v_cmp_gt_f32_e64 s3, v23, v2
	s_delay_alu instid0(VALU_DEP_1)
	s_or_b32 vcc_lo, vcc_lo, s3
	s_or_b32 s20, s4, s20
	v_cndmask_b32_e32 v23, v2, v23, vcc_lo
	s_and_not1_b32 exec_lo, exec_lo, s20
	s_cbranch_execz .LBB3_57
.LBB3_33:                               ; =>This Loop Header: Depth=1
                                        ;     Child Loop BB3_36 Depth 2
                                        ;     Child Loop BB3_42 Depth 2
	;; [unrolled: 1-line block ×3, first 2 shown]
	v_ashrrev_i32_e32 v2, 31, v1
	v_mov_b32_e32 v20, 0
	s_delay_alu instid0(VALU_DEP_2) | instskip(NEXT) | instid1(VALU_DEP_1)
	v_lshlrev_b64 v[4:5], 2, v[1:2]
	v_add_co_u32 v2, vcc_lo, s8, v4
	s_delay_alu instid0(VALU_DEP_2) | instskip(SKIP_3) | instid1(VALU_DEP_1)
	v_add_co_ci_u32_e32 v3, vcc_lo, s9, v5, vcc_lo
	global_load_b32 v18, v[2:3], off
	s_waitcnt vmcnt(0)
	v_subrev_nc_u32_e32 v2, s5, v18
	v_ashrrev_i32_e32 v3, 31, v2
	s_delay_alu instid0(VALU_DEP_1) | instskip(NEXT) | instid1(VALU_DEP_1)
	v_lshlrev_b64 v[6:7], 2, v[2:3]
	v_add_co_u32 v8, vcc_lo, s22, v6
	s_delay_alu instid0(VALU_DEP_2)
	v_add_co_ci_u32_e32 v9, vcc_lo, s23, v7, vcc_lo
	v_add_co_u32 v10, vcc_lo, s12, v6
	v_add_co_ci_u32_e32 v11, vcc_lo, s13, v7, vcc_lo
	global_load_b32 v3, v[8:9], off
	v_add_co_u32 v6, vcc_lo, s26, v6
	v_add_co_ci_u32_e32 v7, vcc_lo, s27, v7, vcc_lo
	v_add_co_u32 v12, vcc_lo, s10, v4
	v_add_co_ci_u32_e32 v13, vcc_lo, s11, v5, vcc_lo
	global_load_b32 v10, v[10:11], off
	global_load_b32 v11, v[6:7], off
	s_waitcnt vmcnt(2)
	v_subrev_nc_u32_e32 v8, s5, v3
	s_delay_alu instid0(VALU_DEP_1) | instskip(SKIP_2) | instid1(VALU_DEP_2)
	v_ashrrev_i32_e32 v9, 31, v8
	s_waitcnt vmcnt(1)
	v_subrev_nc_u32_e32 v25, s5, v10
	v_lshlrev_b64 v[8:9], 2, v[8:9]
	s_delay_alu instid0(VALU_DEP_1) | instskip(NEXT) | instid1(VALU_DEP_2)
	v_add_co_u32 v6, vcc_lo, s18, v8
	v_add_co_ci_u32_e32 v7, vcc_lo, s19, v9, vcc_lo
	s_waitcnt vmcnt(0)
	v_cmp_lt_i32_e32 vcc_lo, v11, v10
	global_load_b32 v19, v[12:13], off
	global_load_b32 v3, v[6:7], off
	v_subrev_nc_u32_e32 v8, s5, v11
	v_mov_b32_e32 v6, v17
	s_and_b32 s3, s2, vcc_lo
	s_delay_alu instid0(SALU_CYCLE_1)
	s_and_saveexec_b32 s4, s3
	s_cbranch_execz .LBB3_39
; %bb.34:                               ;   in Loop: Header=BB3_33 Depth=1
	v_mov_b32_e32 v20, 0
	v_mov_b32_e32 v6, v17
	s_mov_b32 s21, 0
	s_branch .LBB3_36
.LBB3_35:                               ;   in Loop: Header=BB3_36 Depth=2
	s_or_b32 exec_lo, exec_lo, s3
	v_cmp_le_i32_e32 vcc_lo, v7, v9
	v_add_co_ci_u32_e32 v6, vcc_lo, 0, v6, vcc_lo
	v_cmp_ge_i32_e32 vcc_lo, v7, v9
	v_add_co_ci_u32_e32 v8, vcc_lo, 0, v8, vcc_lo
	s_delay_alu instid0(VALU_DEP_3) | instskip(NEXT) | instid1(VALU_DEP_2)
	v_cmp_ge_i32_e32 vcc_lo, v6, v16
	v_cmp_ge_i32_e64 s3, v8, v25
	s_delay_alu instid0(VALU_DEP_1) | instskip(NEXT) | instid1(SALU_CYCLE_1)
	s_or_b32 s3, vcc_lo, s3
	s_and_b32 s3, exec_lo, s3
	s_delay_alu instid0(SALU_CYCLE_1) | instskip(NEXT) | instid1(SALU_CYCLE_1)
	s_or_b32 s21, s3, s21
	s_and_not1_b32 exec_lo, exec_lo, s21
	s_cbranch_execz .LBB3_38
.LBB3_36:                               ;   Parent Loop BB3_33 Depth=1
                                        ; =>  This Inner Loop Header: Depth=2
	s_delay_alu instid0(VALU_DEP_1) | instskip(SKIP_2) | instid1(VALU_DEP_2)
	v_ashrrev_i32_e32 v7, 31, v6
	v_ashrrev_i32_e32 v9, 31, v8
	s_mov_b32 s3, exec_lo
	v_lshlrev_b64 v[10:11], 2, v[6:7]
	s_delay_alu instid0(VALU_DEP_2) | instskip(NEXT) | instid1(VALU_DEP_2)
	v_lshlrev_b64 v[12:13], 2, v[8:9]
	v_add_co_u32 v26, vcc_lo, s24, v10
	s_delay_alu instid0(VALU_DEP_3) | instskip(NEXT) | instid1(VALU_DEP_3)
	v_add_co_ci_u32_e32 v27, vcc_lo, s25, v11, vcc_lo
	v_add_co_u32 v28, vcc_lo, s14, v12
	s_delay_alu instid0(VALU_DEP_4)
	v_add_co_ci_u32_e32 v29, vcc_lo, s15, v13, vcc_lo
	global_load_b32 v7, v[26:27], off
	global_load_b32 v9, v[28:29], off
	s_waitcnt vmcnt(0)
	v_cmpx_eq_u32_e64 v7, v9
	s_cbranch_execz .LBB3_35
; %bb.37:                               ;   in Loop: Header=BB3_36 Depth=2
	v_add_co_u32 v12, vcc_lo, s16, v12
	v_add_co_ci_u32_e32 v13, vcc_lo, s17, v13, vcc_lo
	v_add_co_u32 v10, vcc_lo, s18, v10
	v_add_co_ci_u32_e32 v11, vcc_lo, s19, v11, vcc_lo
	global_load_b32 v12, v[12:13], off
	s_waitcnt vmcnt(0)
	v_ashrrev_i32_e32 v13, 31, v12
	s_delay_alu instid0(VALU_DEP_1) | instskip(NEXT) | instid1(VALU_DEP_1)
	v_lshlrev_b64 v[12:13], 2, v[12:13]
	v_add_co_u32 v12, vcc_lo, s18, v12
	s_delay_alu instid0(VALU_DEP_2)
	v_add_co_ci_u32_e32 v13, vcc_lo, s19, v13, vcc_lo
	s_clause 0x1
	global_load_b32 v10, v[10:11], off
	global_load_b32 v11, v[12:13], off
	s_waitcnt vmcnt(0)
	v_fmac_f32_e32 v20, v10, v11
	s_branch .LBB3_35
.LBB3_38:                               ;   in Loop: Header=BB3_33 Depth=1
	s_or_b32 exec_lo, exec_lo, s21
.LBB3_39:                               ;   in Loop: Header=BB3_33 Depth=1
	s_delay_alu instid0(SALU_CYCLE_1)
	s_or_b32 exec_lo, exec_lo, s4
	s_waitcnt vmcnt(1)
	v_sub_f32_e32 v24, v20, v19
	s_mov_b32 s4, exec_lo
	v_cmpx_lt_i32_e64 v8, v25
	s_cbranch_execz .LBB3_47
; %bb.40:                               ;   in Loop: Header=BB3_33 Depth=1
	v_ashrrev_i32_e32 v9, 31, v8
	s_mov_b32 s29, 0
                                        ; implicit-def: $sgpr21
                                        ; implicit-def: $sgpr31
                                        ; implicit-def: $sgpr30
	s_delay_alu instid0(VALU_DEP_1) | instskip(NEXT) | instid1(VALU_DEP_1)
	v_lshlrev_b64 v[10:11], 2, v[8:9]
	v_add_co_u32 v10, vcc_lo, s14, v10
	s_delay_alu instid0(VALU_DEP_2)
	v_add_co_ci_u32_e32 v11, vcc_lo, s15, v11, vcc_lo
	s_set_inst_prefetch_distance 0x1
	s_branch .LBB3_42
	.p2align	6
.LBB3_41:                               ;   in Loop: Header=BB3_42 Depth=2
	s_or_b32 exec_lo, exec_lo, s33
	s_delay_alu instid0(SALU_CYCLE_1) | instskip(NEXT) | instid1(SALU_CYCLE_1)
	s_and_b32 s3, exec_lo, s31
	s_or_b32 s29, s3, s29
	s_and_not1_b32 s3, s21, exec_lo
	s_and_b32 s21, s30, exec_lo
	s_delay_alu instid0(SALU_CYCLE_1)
	s_or_b32 s21, s3, s21
	s_and_not1_b32 exec_lo, exec_lo, s29
	s_cbranch_execz .LBB3_44
.LBB3_42:                               ;   Parent Loop BB3_33 Depth=1
                                        ; =>  This Inner Loop Header: Depth=2
	global_load_b32 v7, v[10:11], off
	v_dual_mov_b32 v13, v9 :: v_dual_mov_b32 v12, v8
	s_or_b32 s30, s30, exec_lo
	s_or_b32 s31, s31, exec_lo
	s_mov_b32 s33, exec_lo
                                        ; implicit-def: $vgpr8_vgpr9
	s_waitcnt vmcnt(0)
	v_subrev_nc_u32_e32 v7, s5, v7
	s_delay_alu instid0(VALU_DEP_1)
	v_cmpx_ne_u32_e64 v7, v14
	s_cbranch_execz .LBB3_41
; %bb.43:                               ;   in Loop: Header=BB3_42 Depth=2
	v_add_co_u32 v8, vcc_lo, v12, 1
	v_add_co_ci_u32_e32 v9, vcc_lo, 0, v13, vcc_lo
	v_add_co_u32 v10, s3, v10, 4
	s_delay_alu instid0(VALU_DEP_3) | instskip(SKIP_4) | instid1(SALU_CYCLE_1)
	v_cmp_ge_i32_e32 vcc_lo, v8, v25
	v_add_co_ci_u32_e64 v11, s3, 0, v11, s3
	s_and_not1_b32 s3, s31, exec_lo
	s_and_not1_b32 s30, s30, exec_lo
	s_and_b32 s31, vcc_lo, exec_lo
	s_or_b32 s31, s3, s31
	s_branch .LBB3_41
.LBB3_44:                               ;   in Loop: Header=BB3_33 Depth=1
	s_set_inst_prefetch_distance 0x2
	s_or_b32 exec_lo, exec_lo, s29
	s_and_saveexec_b32 s3, s21
	s_delay_alu instid0(SALU_CYCLE_1)
	s_xor_b32 s3, exec_lo, s3
	s_cbranch_execz .LBB3_46
; %bb.45:                               ;   in Loop: Header=BB3_33 Depth=1
	v_lshlrev_b64 v[7:8], 2, v[12:13]
	s_delay_alu instid0(VALU_DEP_1) | instskip(NEXT) | instid1(VALU_DEP_2)
	v_add_co_u32 v7, vcc_lo, s16, v7
	v_add_co_ci_u32_e32 v8, vcc_lo, s17, v8, vcc_lo
	global_load_b32 v7, v[7:8], off
	s_waitcnt vmcnt(0)
	v_ashrrev_i32_e32 v8, 31, v7
	s_delay_alu instid0(VALU_DEP_1) | instskip(NEXT) | instid1(VALU_DEP_1)
	v_lshlrev_b64 v[7:8], 2, v[7:8]
	v_add_co_u32 v7, vcc_lo, s18, v7
	s_delay_alu instid0(VALU_DEP_2)
	v_add_co_ci_u32_e32 v8, vcc_lo, s19, v8, vcc_lo
	global_load_b32 v7, v[7:8], off
	s_waitcnt vmcnt(0)
	v_add_f32_e32 v24, v24, v7
.LBB3_46:                               ;   in Loop: Header=BB3_33 Depth=1
	s_or_b32 exec_lo, exec_lo, s3
.LBB3_47:                               ;   in Loop: Header=BB3_33 Depth=1
	s_delay_alu instid0(SALU_CYCLE_1) | instskip(NEXT) | instid1(SALU_CYCLE_1)
	s_or_b32 exec_lo, exec_lo, s4
	s_mov_b32 s4, exec_lo
	v_cmpx_lt_i32_e64 v6, v16
	s_cbranch_execz .LBB3_55
; %bb.48:                               ;   in Loop: Header=BB3_33 Depth=1
	v_ashrrev_i32_e32 v7, 31, v6
	s_mov_b32 s29, 0
                                        ; implicit-def: $sgpr21
                                        ; implicit-def: $sgpr31
                                        ; implicit-def: $sgpr30
	s_delay_alu instid0(VALU_DEP_1) | instskip(NEXT) | instid1(VALU_DEP_1)
	v_lshlrev_b64 v[8:9], 2, v[6:7]
	v_add_co_u32 v8, vcc_lo, s24, v8
	s_delay_alu instid0(VALU_DEP_2)
	v_add_co_ci_u32_e32 v9, vcc_lo, s25, v9, vcc_lo
	s_set_inst_prefetch_distance 0x1
	s_branch .LBB3_50
	.p2align	6
.LBB3_49:                               ;   in Loop: Header=BB3_50 Depth=2
	s_or_b32 exec_lo, exec_lo, s33
	s_delay_alu instid0(SALU_CYCLE_1) | instskip(NEXT) | instid1(SALU_CYCLE_1)
	s_and_b32 s3, exec_lo, s31
	s_or_b32 s29, s3, s29
	s_and_not1_b32 s3, s21, exec_lo
	s_and_b32 s21, s30, exec_lo
	s_delay_alu instid0(SALU_CYCLE_1)
	s_or_b32 s21, s3, s21
	s_and_not1_b32 exec_lo, exec_lo, s29
	s_cbranch_execz .LBB3_52
.LBB3_50:                               ;   Parent Loop BB3_33 Depth=1
                                        ; =>  This Inner Loop Header: Depth=2
	global_load_b32 v12, v[8:9], off
	v_dual_mov_b32 v11, v7 :: v_dual_mov_b32 v10, v6
	s_or_b32 s30, s30, exec_lo
	s_or_b32 s31, s31, exec_lo
	s_mov_b32 s33, exec_lo
                                        ; implicit-def: $vgpr6_vgpr7
	s_waitcnt vmcnt(0)
	v_cmpx_ne_u32_e64 v12, v18
	s_cbranch_execz .LBB3_49
; %bb.51:                               ;   in Loop: Header=BB3_50 Depth=2
	v_add_co_u32 v6, vcc_lo, v10, 1
	v_add_co_ci_u32_e32 v7, vcc_lo, 0, v11, vcc_lo
	v_add_co_u32 v8, s3, v8, 4
	s_delay_alu instid0(VALU_DEP_3) | instskip(SKIP_4) | instid1(SALU_CYCLE_1)
	v_cmp_ge_i32_e32 vcc_lo, v6, v16
	v_add_co_ci_u32_e64 v9, s3, 0, v9, s3
	s_and_not1_b32 s3, s31, exec_lo
	s_and_not1_b32 s30, s30, exec_lo
	s_and_b32 s31, vcc_lo, exec_lo
	s_or_b32 s31, s3, s31
	s_branch .LBB3_49
.LBB3_52:                               ;   in Loop: Header=BB3_33 Depth=1
	s_set_inst_prefetch_distance 0x2
	s_or_b32 exec_lo, exec_lo, s29
	s_and_saveexec_b32 s3, s21
	s_delay_alu instid0(SALU_CYCLE_1)
	s_xor_b32 s3, exec_lo, s3
	s_cbranch_execz .LBB3_54
; %bb.53:                               ;   in Loop: Header=BB3_33 Depth=1
	v_lshlrev_b64 v[6:7], 2, v[10:11]
	s_delay_alu instid0(VALU_DEP_1) | instskip(NEXT) | instid1(VALU_DEP_2)
	v_add_co_u32 v6, vcc_lo, s18, v6
	v_add_co_ci_u32_e32 v7, vcc_lo, s19, v7, vcc_lo
	global_load_b32 v6, v[6:7], off
	s_waitcnt vmcnt(0)
	v_fmac_f32_e32 v24, v6, v3
.LBB3_54:                               ;   in Loop: Header=BB3_33 Depth=1
	s_or_b32 exec_lo, exec_lo, s3
.LBB3_55:                               ;   in Loop: Header=BB3_33 Depth=1
	s_delay_alu instid0(SALU_CYCLE_1) | instskip(SKIP_2) | instid1(VALU_DEP_1)
	s_or_b32 exec_lo, exec_lo, s4
	v_sub_f32_e32 v6, v19, v20
	s_waitcnt vmcnt(0)
	v_div_scale_f32 v7, null, v3, v3, v6
	s_delay_alu instid0(VALU_DEP_1) | instskip(SKIP_2) | instid1(VALU_DEP_1)
	v_rcp_f32_e32 v8, v7
	s_waitcnt_depctr 0xfff
	v_fma_f32 v9, -v7, v8, 1.0
	v_fmac_f32_e32 v8, v9, v8
	v_div_scale_f32 v9, vcc_lo, v6, v3, v6
	s_delay_alu instid0(VALU_DEP_1) | instskip(NEXT) | instid1(VALU_DEP_1)
	v_mul_f32_e32 v10, v9, v8
	v_fma_f32 v11, -v7, v10, v9
	s_delay_alu instid0(VALU_DEP_1) | instskip(NEXT) | instid1(VALU_DEP_1)
	v_fmac_f32_e32 v10, v11, v8
	v_fma_f32 v7, -v7, v10, v9
	s_delay_alu instid0(VALU_DEP_1) | instskip(SKIP_1) | instid1(VALU_DEP_2)
	v_div_fmas_f32 v7, v7, v8, v10
	v_cmp_gt_i32_e32 vcc_lo, v14, v2
	v_div_fixup_f32 v7, v7, v3, v6
	s_delay_alu instid0(VALU_DEP_1) | instskip(NEXT) | instid1(VALU_DEP_1)
	v_cndmask_b32_e32 v6, v6, v7, vcc_lo
	v_cmp_class_f32_e64 s4, v6, 0x1f8
	s_delay_alu instid0(VALU_DEP_1)
	s_and_saveexec_b32 s3, s4
	s_cbranch_execz .LBB3_32
; %bb.56:                               ;   in Loop: Header=BB3_33 Depth=1
	v_add_co_u32 v4, vcc_lo, s18, v4
	v_add_co_ci_u32_e32 v5, vcc_lo, s19, v5, vcc_lo
	global_store_b32 v[4:5], v6, off
	s_branch .LBB3_32
.LBB3_57:
	s_or_b32 exec_lo, exec_lo, s20
.LBB3_58:
	s_delay_alu instid0(SALU_CYCLE_1)
	s_or_b32 exec_lo, exec_lo, s7
.LBB3_59:
	s_delay_alu instid0(SALU_CYCLE_1)
	s_or_b32 exec_lo, exec_lo, s6
.LBB3_60:
	s_delay_alu instid0(SALU_CYCLE_1) | instskip(SKIP_2) | instid1(VALU_DEP_1)
	s_or_b32 exec_lo, exec_lo, s28
	v_mbcnt_lo_u32_b32 v1, -1, 0
	s_mov_b32 s2, exec_lo
	v_xor_b32_e32 v2, 1, v1
	s_delay_alu instid0(VALU_DEP_1) | instskip(SKIP_1) | instid1(VALU_DEP_1)
	v_cmp_gt_i32_e32 vcc_lo, 32, v2
	v_cndmask_b32_e32 v1, v1, v2, vcc_lo
	v_lshlrev_b32_e32 v1, 2, v1
	ds_bpermute_b32 v1, v1, v23
	v_cmpx_ne_u32_e32 0, v22
	s_cbranch_execz .LBB3_62
; %bb.61:
	s_waitcnt lgkmcnt(0)
	v_cmp_lt_f32_e32 vcc_lo, v23, v1
	v_lshlrev_b32_e32 v2, 2, v21
	v_cndmask_b32_e32 v1, v23, v1, vcc_lo
	ds_store_b32 v2, v1
.LBB3_62:
	s_or_b32 exec_lo, exec_lo, s2
	s_waitcnt lgkmcnt(0)
	v_lshlrev_b32_e32 v1, 2, v0
	s_mov_b32 s2, exec_lo
	s_waitcnt_vscnt null, 0x0
	s_barrier
	buffer_gl0_inv
	v_cmpx_gt_u32_e32 0x100, v0
	s_cbranch_execz .LBB3_64
; %bb.63:
	ds_load_2addr_stride64_b32 v[2:3], v1 offset1:4
	s_waitcnt lgkmcnt(0)
	v_cmp_lt_f32_e32 vcc_lo, v2, v3
	v_cndmask_b32_e32 v2, v2, v3, vcc_lo
	ds_store_b32 v1, v2
.LBB3_64:
	s_or_b32 exec_lo, exec_lo, s2
	s_delay_alu instid0(SALU_CYCLE_1)
	s_mov_b32 s2, exec_lo
	s_waitcnt lgkmcnt(0)
	s_barrier
	buffer_gl0_inv
	v_cmpx_gt_u32_e32 0x80, v0
	s_cbranch_execz .LBB3_66
; %bb.65:
	ds_load_2addr_stride64_b32 v[2:3], v1 offset1:2
	s_waitcnt lgkmcnt(0)
	v_cmp_lt_f32_e32 vcc_lo, v2, v3
	v_cndmask_b32_e32 v2, v2, v3, vcc_lo
	ds_store_b32 v1, v2
.LBB3_66:
	s_or_b32 exec_lo, exec_lo, s2
	s_delay_alu instid0(SALU_CYCLE_1)
	s_mov_b32 s2, exec_lo
	s_waitcnt lgkmcnt(0)
	;; [unrolled: 15-line block ×3, first 2 shown]
	s_barrier
	buffer_gl0_inv
	v_cmpx_gt_u32_e32 32, v0
	s_cbranch_execz .LBB3_70
; %bb.69:
	ds_load_2addr_b32 v[2:3], v1 offset1:32
	s_waitcnt lgkmcnt(0)
	v_cmp_lt_f32_e32 vcc_lo, v2, v3
	v_cndmask_b32_e32 v2, v2, v3, vcc_lo
	ds_store_b32 v1, v2
.LBB3_70:
	s_or_b32 exec_lo, exec_lo, s2
	s_delay_alu instid0(SALU_CYCLE_1)
	s_mov_b32 s2, exec_lo
	s_waitcnt lgkmcnt(0)
	s_barrier
	buffer_gl0_inv
	v_cmpx_gt_u32_e32 16, v0
	s_cbranch_execz .LBB3_72
; %bb.71:
	ds_load_2addr_b32 v[2:3], v1 offset1:16
	s_waitcnt lgkmcnt(0)
	v_cmp_lt_f32_e32 vcc_lo, v2, v3
	v_cndmask_b32_e32 v2, v2, v3, vcc_lo
	ds_store_b32 v1, v2
.LBB3_72:
	s_or_b32 exec_lo, exec_lo, s2
	s_delay_alu instid0(SALU_CYCLE_1)
	s_mov_b32 s2, exec_lo
	s_waitcnt lgkmcnt(0)
	;; [unrolled: 15-line block ×4, first 2 shown]
	s_barrier
	buffer_gl0_inv
	v_cmpx_gt_u32_e32 2, v0
	s_cbranch_execz .LBB3_78
; %bb.77:
	ds_load_2addr_b32 v[2:3], v1 offset1:2
	s_waitcnt lgkmcnt(0)
	v_cmp_lt_f32_e32 vcc_lo, v2, v3
	v_cndmask_b32_e32 v2, v2, v3, vcc_lo
	ds_store_b32 v1, v2
.LBB3_78:
	s_or_b32 exec_lo, exec_lo, s2
	v_cmp_eq_u32_e32 vcc_lo, 0, v0
	s_waitcnt lgkmcnt(0)
	s_barrier
	buffer_gl0_inv
	s_and_saveexec_b32 s3, vcc_lo
	s_cbranch_execz .LBB3_80
; %bb.79:
	v_mov_b32_e32 v2, 0
	ds_load_b64 v[0:1], v2
	s_waitcnt lgkmcnt(0)
	v_cmp_lt_f32_e64 s2, v0, v1
	s_delay_alu instid0(VALU_DEP_1)
	v_cndmask_b32_e64 v0, v0, v1, s2
	ds_store_b32 v2, v0
.LBB3_80:
	s_or_b32 exec_lo, exec_lo, s3
	s_waitcnt lgkmcnt(0)
	s_barrier
	buffer_gl0_inv
	s_and_saveexec_b32 s2, vcc_lo
	s_cbranch_execz .LBB3_85
; %bb.81:
	s_load_b128 s[4:7], s[0:1], 0x70
	v_mov_b32_e32 v2, 0
	s_mov_b32 s1, 0
                                        ; implicit-def: $sgpr2
                                        ; implicit-def: $sgpr3
	ds_load_b32 v0, v2
	s_waitcnt lgkmcnt(0)
	s_load_b32 s0, s[6:7], 0x0
	s_waitcnt lgkmcnt(0)
	v_div_scale_f32 v3, null, s0, s0, v0
	v_div_scale_f32 v6, vcc_lo, v0, s0, v0
	s_delay_alu instid0(VALU_DEP_2) | instskip(SKIP_2) | instid1(VALU_DEP_1)
	v_rcp_f32_e32 v4, v3
	s_waitcnt_depctr 0xfff
	v_fma_f32 v5, -v3, v4, 1.0
	v_fmac_f32_e32 v4, v5, v4
	s_delay_alu instid0(VALU_DEP_1) | instskip(SKIP_2) | instid1(VALU_DEP_1)
	v_mul_f32_e32 v5, v6, v4
	global_load_b32 v1, v2, s[4:5] glc
	v_fma_f32 v7, -v3, v5, v6
	v_fmac_f32_e32 v5, v7, v4
	s_delay_alu instid0(VALU_DEP_1) | instskip(NEXT) | instid1(VALU_DEP_1)
	v_fma_f32 v3, -v3, v5, v6
	v_div_fmas_f32 v3, v3, v4, v5
	s_delay_alu instid0(VALU_DEP_1) | instskip(NEXT) | instid1(VALU_DEP_1)
	v_div_fixup_f32 v0, v3, s0, v0
	v_cmp_eq_f32_e32 vcc_lo, 0, v0
	s_waitcnt vmcnt(0)
	v_cmp_eq_u32_e64 s6, 0x80000000, v1
	s_set_inst_prefetch_distance 0x1
	s_branch .LBB3_83
	.p2align	6
.LBB3_82:                               ;   in Loop: Header=BB3_83 Depth=1
	s_or_b32 exec_lo, exec_lo, s7
	s_delay_alu instid0(SALU_CYCLE_1) | instskip(NEXT) | instid1(SALU_CYCLE_1)
	s_and_b32 s0, exec_lo, s2
	s_or_b32 s1, s0, s1
	s_and_not1_b32 s0, s6, exec_lo
	s_and_b32 s6, s3, exec_lo
	s_delay_alu instid0(SALU_CYCLE_1)
	s_or_b32 s6, s0, s6
	s_and_not1_b32 exec_lo, exec_lo, s1
	s_cbranch_execz .LBB3_85
.LBB3_83:                               ; =>This Inner Loop Header: Depth=1
	v_cmp_lt_f32_e64 s0, v1, v0
	s_delay_alu instid0(VALU_DEP_2) | instskip(SKIP_2) | instid1(VALU_DEP_1)
	s_and_b32 s7, vcc_lo, s6
	s_and_not1_b32 s3, s3, exec_lo
	s_or_b32 s2, s2, exec_lo
	s_or_b32 s0, s0, s7
	s_delay_alu instid0(SALU_CYCLE_1)
	s_and_saveexec_b32 s7, s0
	s_cbranch_execz .LBB3_82
; %bb.84:                               ;   in Loop: Header=BB3_83 Depth=1
	global_atomic_cmpswap_b32 v3, v2, v[0:1], s[4:5] glc
	s_and_not1_b32 s3, s3, exec_lo
	s_and_not1_b32 s2, s2, exec_lo
	s_waitcnt vmcnt(0)
	v_cmp_eq_u32_e64 s0, v3, v1
	s_delay_alu instid0(VALU_DEP_1) | instskip(SKIP_1) | instid1(SALU_CYCLE_1)
	v_cndmask_b32_e64 v1, v3, v1, s0
	s_and_b32 s0, s0, exec_lo
	s_or_b32 s2, s2, s0
	s_delay_alu instid0(VALU_DEP_1) | instskip(SKIP_1) | instid1(VALU_DEP_2)
	v_cmp_class_f32_e64 s6, v1, 32
	v_mov_b32_e32 v1, v3
	s_and_b32 s6, s6, exec_lo
	s_delay_alu instid0(SALU_CYCLE_1)
	s_or_b32 s3, s3, s6
                                        ; implicit-def: $sgpr6
	s_branch .LBB3_82
.LBB3_85:
	s_set_inst_prefetch_distance 0x2
	s_endpgm
	.section	.rodata,"a",@progbits
	.p2align	6, 0x0
	.amdhsa_kernel _ZN9rocsparseL16kernel_calculateILi1024ELi2ELb1EfiiEEvT4_T3_PKS2_S4_PKS1_PKT2_21rocsparse_index_base_S4_S4_S6_S4_S4_S6_S4_PS7_PNS_15floating_traitsIS7_E6data_tEPKSE_
		.amdhsa_group_segment_fixed_size 2048
		.amdhsa_private_segment_fixed_size 0
		.amdhsa_kernarg_size 128
		.amdhsa_user_sgpr_count 15
		.amdhsa_user_sgpr_dispatch_ptr 0
		.amdhsa_user_sgpr_queue_ptr 0
		.amdhsa_user_sgpr_kernarg_segment_ptr 1
		.amdhsa_user_sgpr_dispatch_id 0
		.amdhsa_user_sgpr_private_segment_size 0
		.amdhsa_wavefront_size32 1
		.amdhsa_uses_dynamic_stack 0
		.amdhsa_enable_private_segment 0
		.amdhsa_system_sgpr_workgroup_id_x 1
		.amdhsa_system_sgpr_workgroup_id_y 0
		.amdhsa_system_sgpr_workgroup_id_z 0
		.amdhsa_system_sgpr_workgroup_info 0
		.amdhsa_system_vgpr_workitem_id 0
		.amdhsa_next_free_vgpr 37
		.amdhsa_next_free_sgpr 36
		.amdhsa_reserve_vcc 1
		.amdhsa_float_round_mode_32 0
		.amdhsa_float_round_mode_16_64 0
		.amdhsa_float_denorm_mode_32 3
		.amdhsa_float_denorm_mode_16_64 3
		.amdhsa_dx10_clamp 1
		.amdhsa_ieee_mode 1
		.amdhsa_fp16_overflow 0
		.amdhsa_workgroup_processor_mode 1
		.amdhsa_memory_ordered 1
		.amdhsa_forward_progress 0
		.amdhsa_shared_vgpr_count 0
		.amdhsa_exception_fp_ieee_invalid_op 0
		.amdhsa_exception_fp_denorm_src 0
		.amdhsa_exception_fp_ieee_div_zero 0
		.amdhsa_exception_fp_ieee_overflow 0
		.amdhsa_exception_fp_ieee_underflow 0
		.amdhsa_exception_fp_ieee_inexact 0
		.amdhsa_exception_int_div_zero 0
	.end_amdhsa_kernel
	.section	.text._ZN9rocsparseL16kernel_calculateILi1024ELi2ELb1EfiiEEvT4_T3_PKS2_S4_PKS1_PKT2_21rocsparse_index_base_S4_S4_S6_S4_S4_S6_S4_PS7_PNS_15floating_traitsIS7_E6data_tEPKSE_,"axG",@progbits,_ZN9rocsparseL16kernel_calculateILi1024ELi2ELb1EfiiEEvT4_T3_PKS2_S4_PKS1_PKT2_21rocsparse_index_base_S4_S4_S6_S4_S4_S6_S4_PS7_PNS_15floating_traitsIS7_E6data_tEPKSE_,comdat
.Lfunc_end3:
	.size	_ZN9rocsparseL16kernel_calculateILi1024ELi2ELb1EfiiEEvT4_T3_PKS2_S4_PKS1_PKT2_21rocsparse_index_base_S4_S4_S6_S4_S4_S6_S4_PS7_PNS_15floating_traitsIS7_E6data_tEPKSE_, .Lfunc_end3-_ZN9rocsparseL16kernel_calculateILi1024ELi2ELb1EfiiEEvT4_T3_PKS2_S4_PKS1_PKT2_21rocsparse_index_base_S4_S4_S6_S4_S4_S6_S4_PS7_PNS_15floating_traitsIS7_E6data_tEPKSE_
                                        ; -- End function
	.section	.AMDGPU.csdata,"",@progbits
; Kernel info:
; codeLenInByte = 4276
; NumSgprs: 38
; NumVgprs: 37
; ScratchSize: 0
; MemoryBound: 0
; FloatMode: 240
; IeeeMode: 1
; LDSByteSize: 2048 bytes/workgroup (compile time only)
; SGPRBlocks: 4
; VGPRBlocks: 4
; NumSGPRsForWavesPerEU: 38
; NumVGPRsForWavesPerEU: 37
; Occupancy: 16
; WaveLimiterHint : 1
; COMPUTE_PGM_RSRC2:SCRATCH_EN: 0
; COMPUTE_PGM_RSRC2:USER_SGPR: 15
; COMPUTE_PGM_RSRC2:TRAP_HANDLER: 0
; COMPUTE_PGM_RSRC2:TGID_X_EN: 1
; COMPUTE_PGM_RSRC2:TGID_Y_EN: 0
; COMPUTE_PGM_RSRC2:TGID_Z_EN: 0
; COMPUTE_PGM_RSRC2:TIDIG_COMP_CNT: 0
	.section	.text._ZN9rocsparseL16kernel_calculateILi1024ELi4ELb1EfiiEEvT4_T3_PKS2_S4_PKS1_PKT2_21rocsparse_index_base_S4_S4_S6_S4_S4_S6_S4_PS7_PNS_15floating_traitsIS7_E6data_tEPKSE_,"axG",@progbits,_ZN9rocsparseL16kernel_calculateILi1024ELi4ELb1EfiiEEvT4_T3_PKS2_S4_PKS1_PKT2_21rocsparse_index_base_S4_S4_S6_S4_S4_S6_S4_PS7_PNS_15floating_traitsIS7_E6data_tEPKSE_,comdat
	.globl	_ZN9rocsparseL16kernel_calculateILi1024ELi4ELb1EfiiEEvT4_T3_PKS2_S4_PKS1_PKT2_21rocsparse_index_base_S4_S4_S6_S4_S4_S6_S4_PS7_PNS_15floating_traitsIS7_E6data_tEPKSE_ ; -- Begin function _ZN9rocsparseL16kernel_calculateILi1024ELi4ELb1EfiiEEvT4_T3_PKS2_S4_PKS1_PKT2_21rocsparse_index_base_S4_S4_S6_S4_S4_S6_S4_PS7_PNS_15floating_traitsIS7_E6data_tEPKSE_
	.p2align	8
	.type	_ZN9rocsparseL16kernel_calculateILi1024ELi4ELb1EfiiEEvT4_T3_PKS2_S4_PKS1_PKT2_21rocsparse_index_base_S4_S4_S6_S4_S4_S6_S4_PS7_PNS_15floating_traitsIS7_E6data_tEPKSE_,@function
_ZN9rocsparseL16kernel_calculateILi1024ELi4ELb1EfiiEEvT4_T3_PKS2_S4_PKS1_PKT2_21rocsparse_index_base_S4_S4_S6_S4_S4_S6_S4_PS7_PNS_15floating_traitsIS7_E6data_tEPKSE_: ; @_ZN9rocsparseL16kernel_calculateILi1024ELi4ELb1EfiiEEvT4_T3_PKS2_S4_PKS1_PKT2_21rocsparse_index_base_S4_S4_S6_S4_S4_S6_S4_PS7_PNS_15floating_traitsIS7_E6data_tEPKSE_
; %bb.0:
	s_load_b32 s5, s[0:1], 0x0
	v_lshrrev_b32_e32 v15, 2, v0
	v_and_b32_e32 v16, 3, v0
	v_mov_b32_e32 v18, 0
	s_mov_b32 s6, exec_lo
	s_delay_alu instid0(VALU_DEP_3) | instskip(SKIP_1) | instid1(VALU_DEP_1)
	v_lshl_or_b32 v17, s15, 10, v15
	s_waitcnt lgkmcnt(0)
	v_cmpx_gt_i32_e64 s5, v17
	s_cbranch_execz .LBB4_33
; %bb.1:
	s_clause 0x3
	s_load_b32 s7, s[0:1], 0x28
	s_load_b256 s[8:15], s[0:1], 0x50
	s_load_b256 s[16:23], s[0:1], 0x30
	;; [unrolled: 1-line block ×3, first 2 shown]
	v_mov_b32_e32 v18, 0
	s_mov_b32 s33, 0
	s_waitcnt lgkmcnt(0)
	v_subrev_nc_u32_e32 v19, s7, v16
	s_branch .LBB4_5
.LBB4_2:                                ;   in Loop: Header=BB4_5 Depth=1
	s_or_b32 exec_lo, exec_lo, s36
.LBB4_3:                                ;   in Loop: Header=BB4_5 Depth=1
	s_delay_alu instid0(SALU_CYCLE_1)
	s_or_b32 exec_lo, exec_lo, s35
.LBB4_4:                                ;   in Loop: Header=BB4_5 Depth=1
	s_delay_alu instid0(SALU_CYCLE_1) | instskip(SKIP_1) | instid1(SALU_CYCLE_1)
	s_or_b32 exec_lo, exec_lo, s34
	s_add_i32 s33, s33, 1
	s_cmp_lg_u32 s33, 4
	s_cbranch_scc0 .LBB4_33
.LBB4_5:                                ; =>This Loop Header: Depth=1
                                        ;     Child Loop BB4_9 Depth 2
                                        ;       Child Loop BB4_12 Depth 3
                                        ;       Child Loop BB4_18 Depth 3
	;; [unrolled: 1-line block ×3, first 2 shown]
	v_lshl_add_u32 v1, s33, 8, v17
	s_mov_b32 s34, exec_lo
	s_delay_alu instid0(VALU_DEP_1)
	v_cmpx_gt_i32_e64 s5, v1
	s_cbranch_execz .LBB4_4
; %bb.6:                                ;   in Loop: Header=BB4_5 Depth=1
	v_ashrrev_i32_e32 v2, 31, v1
	s_mov_b32 s35, exec_lo
	s_delay_alu instid0(VALU_DEP_1) | instskip(NEXT) | instid1(VALU_DEP_1)
	v_lshlrev_b64 v[3:4], 2, v[1:2]
	v_add_co_u32 v5, vcc_lo, s26, v3
	s_delay_alu instid0(VALU_DEP_2)
	v_add_co_ci_u32_e32 v6, vcc_lo, s27, v4, vcc_lo
	v_add_co_u32 v7, vcc_lo, s24, v3
	v_add_co_ci_u32_e32 v8, vcc_lo, s25, v4, vcc_lo
	global_load_b32 v2, v[5:6], off
	global_load_b32 v5, v[7:8], off
	s_waitcnt vmcnt(1)
	v_subrev_nc_u32_e32 v20, s7, v2
	s_waitcnt vmcnt(0)
	v_add_nc_u32_e32 v2, v19, v5
	s_delay_alu instid0(VALU_DEP_1)
	v_cmpx_lt_i32_e64 v2, v20
	s_cbranch_execz .LBB4_3
; %bb.7:                                ;   in Loop: Header=BB4_5 Depth=1
	v_add_co_u32 v5, vcc_lo, s18, v3
	v_add_co_ci_u32_e32 v6, vcc_lo, s19, v4, vcc_lo
	v_add_co_u32 v3, vcc_lo, s16, v3
	v_add_co_ci_u32_e32 v4, vcc_lo, s17, v4, vcc_lo
	s_mov_b32 s36, 0
	global_load_b32 v5, v[5:6], off
	global_load_b32 v3, v[3:4], off
	s_waitcnt vmcnt(1)
	v_subrev_nc_u32_e32 v21, s7, v5
	s_waitcnt vmcnt(0)
	v_subrev_nc_u32_e32 v22, s7, v3
	v_cmp_lt_i32_e64 s2, v3, v5
	s_branch .LBB4_9
.LBB4_8:                                ;   in Loop: Header=BB4_9 Depth=2
	s_or_b32 exec_lo, exec_lo, s3
	v_add_f32_e32 v4, v4, v26
	v_cmp_eq_u32_e32 vcc_lo, v1, v3
	s_delay_alu instid0(VALU_DEP_2) | instskip(NEXT) | instid1(VALU_DEP_1)
	v_dual_cndmask_b32 v3, v26, v4 :: v_dual_add_nc_u32 v2, 4, v2
	v_cmp_ge_i32_e64 s4, v2, v20
	s_delay_alu instid0(VALU_DEP_2) | instskip(NEXT) | instid1(VALU_DEP_1)
	v_and_b32_e32 v3, 0x7fffffff, v3
	v_cmp_nlg_f32_e32 vcc_lo, 0x7f800000, v3
	v_cmp_gt_f32_e64 s3, v18, v3
	s_delay_alu instid0(VALU_DEP_1)
	s_or_b32 vcc_lo, vcc_lo, s3
	s_or_b32 s36, s4, s36
	v_cndmask_b32_e32 v18, v3, v18, vcc_lo
	s_and_not1_b32 exec_lo, exec_lo, s36
	s_cbranch_execz .LBB4_2
.LBB4_9:                                ;   Parent Loop BB4_5 Depth=1
                                        ; =>  This Loop Header: Depth=2
                                        ;       Child Loop BB4_12 Depth 3
                                        ;       Child Loop BB4_18 Depth 3
                                        ;       Child Loop BB4_26 Depth 3
	v_ashrrev_i32_e32 v3, 31, v2
	v_mov_b32_e32 v25, 0
	s_delay_alu instid0(VALU_DEP_2) | instskip(NEXT) | instid1(VALU_DEP_1)
	v_lshlrev_b64 v[5:6], 2, v[2:3]
	v_add_co_u32 v3, vcc_lo, s28, v5
	s_delay_alu instid0(VALU_DEP_2) | instskip(SKIP_3) | instid1(VALU_DEP_1)
	v_add_co_ci_u32_e32 v4, vcc_lo, s29, v6, vcc_lo
	global_load_b32 v23, v[3:4], off
	s_waitcnt vmcnt(0)
	v_subrev_nc_u32_e32 v3, s7, v23
	v_ashrrev_i32_e32 v4, 31, v3
	s_delay_alu instid0(VALU_DEP_1) | instskip(NEXT) | instid1(VALU_DEP_1)
	v_lshlrev_b64 v[7:8], 2, v[3:4]
	v_add_co_u32 v9, vcc_lo, s18, v7
	s_delay_alu instid0(VALU_DEP_2)
	v_add_co_ci_u32_e32 v10, vcc_lo, s19, v8, vcc_lo
	v_add_co_u32 v11, vcc_lo, s8, v7
	v_add_co_ci_u32_e32 v12, vcc_lo, s9, v8, vcc_lo
	global_load_b32 v4, v[9:10], off
	v_add_co_u32 v7, vcc_lo, s22, v7
	v_add_co_ci_u32_e32 v8, vcc_lo, s23, v8, vcc_lo
	v_add_co_u32 v13, vcc_lo, s30, v5
	v_add_co_ci_u32_e32 v14, vcc_lo, s31, v6, vcc_lo
	global_load_b32 v11, v[11:12], off
	global_load_b32 v12, v[7:8], off
	s_waitcnt vmcnt(2)
	v_subrev_nc_u32_e32 v9, s7, v4
	s_delay_alu instid0(VALU_DEP_1) | instskip(SKIP_2) | instid1(VALU_DEP_2)
	v_ashrrev_i32_e32 v10, 31, v9
	s_waitcnt vmcnt(1)
	v_subrev_nc_u32_e32 v27, s7, v11
	v_lshlrev_b64 v[9:10], 2, v[9:10]
	s_delay_alu instid0(VALU_DEP_1) | instskip(NEXT) | instid1(VALU_DEP_2)
	v_add_co_u32 v7, vcc_lo, s14, v9
	v_add_co_ci_u32_e32 v8, vcc_lo, s15, v10, vcc_lo
	s_waitcnt vmcnt(0)
	v_cmp_lt_i32_e32 vcc_lo, v12, v11
	global_load_b32 v24, v[13:14], off
	global_load_b32 v4, v[7:8], off
	v_subrev_nc_u32_e32 v9, s7, v12
	v_mov_b32_e32 v7, v22
	s_and_b32 s3, s2, vcc_lo
	s_delay_alu instid0(SALU_CYCLE_1)
	s_and_saveexec_b32 s4, s3
	s_cbranch_execz .LBB4_15
; %bb.10:                               ;   in Loop: Header=BB4_9 Depth=2
	v_mov_b32_e32 v25, 0
	v_mov_b32_e32 v7, v22
	s_mov_b32 s37, 0
	s_branch .LBB4_12
.LBB4_11:                               ;   in Loop: Header=BB4_12 Depth=3
	s_or_b32 exec_lo, exec_lo, s3
	v_cmp_le_i32_e32 vcc_lo, v8, v10
	v_add_co_ci_u32_e32 v7, vcc_lo, 0, v7, vcc_lo
	v_cmp_ge_i32_e32 vcc_lo, v8, v10
	v_add_co_ci_u32_e32 v9, vcc_lo, 0, v9, vcc_lo
	s_delay_alu instid0(VALU_DEP_3) | instskip(NEXT) | instid1(VALU_DEP_2)
	v_cmp_ge_i32_e32 vcc_lo, v7, v21
	v_cmp_ge_i32_e64 s3, v9, v27
	s_delay_alu instid0(VALU_DEP_1) | instskip(NEXT) | instid1(SALU_CYCLE_1)
	s_or_b32 s3, vcc_lo, s3
	s_and_b32 s3, exec_lo, s3
	s_delay_alu instid0(SALU_CYCLE_1) | instskip(NEXT) | instid1(SALU_CYCLE_1)
	s_or_b32 s37, s3, s37
	s_and_not1_b32 exec_lo, exec_lo, s37
	s_cbranch_execz .LBB4_14
.LBB4_12:                               ;   Parent Loop BB4_5 Depth=1
                                        ;     Parent Loop BB4_9 Depth=2
                                        ; =>    This Inner Loop Header: Depth=3
	s_delay_alu instid0(VALU_DEP_1) | instskip(SKIP_2) | instid1(VALU_DEP_2)
	v_ashrrev_i32_e32 v8, 31, v7
	v_ashrrev_i32_e32 v10, 31, v9
	s_mov_b32 s3, exec_lo
	v_lshlrev_b64 v[11:12], 2, v[7:8]
	s_delay_alu instid0(VALU_DEP_2) | instskip(NEXT) | instid1(VALU_DEP_2)
	v_lshlrev_b64 v[13:14], 2, v[9:10]
	v_add_co_u32 v28, vcc_lo, s20, v11
	s_delay_alu instid0(VALU_DEP_3) | instskip(NEXT) | instid1(VALU_DEP_3)
	v_add_co_ci_u32_e32 v29, vcc_lo, s21, v12, vcc_lo
	v_add_co_u32 v30, vcc_lo, s10, v13
	s_delay_alu instid0(VALU_DEP_4)
	v_add_co_ci_u32_e32 v31, vcc_lo, s11, v14, vcc_lo
	global_load_b32 v8, v[28:29], off
	global_load_b32 v10, v[30:31], off
	s_waitcnt vmcnt(0)
	v_cmpx_eq_u32_e64 v8, v10
	s_cbranch_execz .LBB4_11
; %bb.13:                               ;   in Loop: Header=BB4_12 Depth=3
	v_add_co_u32 v13, vcc_lo, s12, v13
	v_add_co_ci_u32_e32 v14, vcc_lo, s13, v14, vcc_lo
	v_add_co_u32 v11, vcc_lo, s14, v11
	v_add_co_ci_u32_e32 v12, vcc_lo, s15, v12, vcc_lo
	global_load_b32 v13, v[13:14], off
	s_waitcnt vmcnt(0)
	v_ashrrev_i32_e32 v14, 31, v13
	s_delay_alu instid0(VALU_DEP_1) | instskip(NEXT) | instid1(VALU_DEP_1)
	v_lshlrev_b64 v[13:14], 2, v[13:14]
	v_add_co_u32 v13, vcc_lo, s14, v13
	s_delay_alu instid0(VALU_DEP_2)
	v_add_co_ci_u32_e32 v14, vcc_lo, s15, v14, vcc_lo
	s_clause 0x1
	global_load_b32 v11, v[11:12], off
	global_load_b32 v12, v[13:14], off
	s_waitcnt vmcnt(0)
	v_fmac_f32_e32 v25, v11, v12
	s_branch .LBB4_11
.LBB4_14:                               ;   in Loop: Header=BB4_9 Depth=2
	s_or_b32 exec_lo, exec_lo, s37
.LBB4_15:                               ;   in Loop: Header=BB4_9 Depth=2
	s_delay_alu instid0(SALU_CYCLE_1)
	s_or_b32 exec_lo, exec_lo, s4
	s_waitcnt vmcnt(1)
	v_sub_f32_e32 v26, v25, v24
	s_mov_b32 s4, exec_lo
	v_cmpx_lt_i32_e64 v9, v27
	s_cbranch_execz .LBB4_23
; %bb.16:                               ;   in Loop: Header=BB4_9 Depth=2
	v_ashrrev_i32_e32 v10, 31, v9
	s_mov_b32 s37, 0
                                        ; implicit-def: $sgpr38
                                        ; implicit-def: $sgpr40
                                        ; implicit-def: $sgpr39
	s_delay_alu instid0(VALU_DEP_1) | instskip(NEXT) | instid1(VALU_DEP_1)
	v_lshlrev_b64 v[11:12], 2, v[9:10]
	v_add_co_u32 v11, vcc_lo, s10, v11
	s_delay_alu instid0(VALU_DEP_2)
	v_add_co_ci_u32_e32 v12, vcc_lo, s11, v12, vcc_lo
	s_set_inst_prefetch_distance 0x1
	s_branch .LBB4_18
	.p2align	6
.LBB4_17:                               ;   in Loop: Header=BB4_18 Depth=3
	s_or_b32 exec_lo, exec_lo, s41
	s_delay_alu instid0(SALU_CYCLE_1) | instskip(NEXT) | instid1(SALU_CYCLE_1)
	s_and_b32 s3, exec_lo, s40
	s_or_b32 s37, s3, s37
	s_and_not1_b32 s3, s38, exec_lo
	s_and_b32 s38, s39, exec_lo
	s_delay_alu instid0(SALU_CYCLE_1)
	s_or_b32 s38, s3, s38
	s_and_not1_b32 exec_lo, exec_lo, s37
	s_cbranch_execz .LBB4_20
.LBB4_18:                               ;   Parent Loop BB4_5 Depth=1
                                        ;     Parent Loop BB4_9 Depth=2
                                        ; =>    This Inner Loop Header: Depth=3
	global_load_b32 v8, v[11:12], off
	v_dual_mov_b32 v14, v10 :: v_dual_mov_b32 v13, v9
	s_or_b32 s39, s39, exec_lo
	s_or_b32 s40, s40, exec_lo
	s_mov_b32 s41, exec_lo
                                        ; implicit-def: $vgpr9_vgpr10
	s_waitcnt vmcnt(0)
	v_subrev_nc_u32_e32 v8, s7, v8
	s_delay_alu instid0(VALU_DEP_1)
	v_cmpx_ne_u32_e64 v8, v1
	s_cbranch_execz .LBB4_17
; %bb.19:                               ;   in Loop: Header=BB4_18 Depth=3
	v_add_co_u32 v9, vcc_lo, v13, 1
	v_add_co_ci_u32_e32 v10, vcc_lo, 0, v14, vcc_lo
	v_add_co_u32 v11, s3, v11, 4
	s_delay_alu instid0(VALU_DEP_3) | instskip(SKIP_4) | instid1(SALU_CYCLE_1)
	v_cmp_ge_i32_e32 vcc_lo, v9, v27
	v_add_co_ci_u32_e64 v12, s3, 0, v12, s3
	s_and_not1_b32 s3, s40, exec_lo
	s_and_not1_b32 s39, s39, exec_lo
	s_and_b32 s40, vcc_lo, exec_lo
	s_or_b32 s40, s3, s40
	s_branch .LBB4_17
.LBB4_20:                               ;   in Loop: Header=BB4_9 Depth=2
	s_set_inst_prefetch_distance 0x2
	s_or_b32 exec_lo, exec_lo, s37
	s_and_saveexec_b32 s3, s38
	s_delay_alu instid0(SALU_CYCLE_1)
	s_xor_b32 s3, exec_lo, s3
	s_cbranch_execz .LBB4_22
; %bb.21:                               ;   in Loop: Header=BB4_9 Depth=2
	v_lshlrev_b64 v[8:9], 2, v[13:14]
	s_delay_alu instid0(VALU_DEP_1) | instskip(NEXT) | instid1(VALU_DEP_2)
	v_add_co_u32 v8, vcc_lo, s12, v8
	v_add_co_ci_u32_e32 v9, vcc_lo, s13, v9, vcc_lo
	global_load_b32 v8, v[8:9], off
	s_waitcnt vmcnt(0)
	v_ashrrev_i32_e32 v9, 31, v8
	s_delay_alu instid0(VALU_DEP_1) | instskip(NEXT) | instid1(VALU_DEP_1)
	v_lshlrev_b64 v[8:9], 2, v[8:9]
	v_add_co_u32 v8, vcc_lo, s14, v8
	s_delay_alu instid0(VALU_DEP_2)
	v_add_co_ci_u32_e32 v9, vcc_lo, s15, v9, vcc_lo
	global_load_b32 v8, v[8:9], off
	s_waitcnt vmcnt(0)
	v_add_f32_e32 v26, v26, v8
.LBB4_22:                               ;   in Loop: Header=BB4_9 Depth=2
	s_or_b32 exec_lo, exec_lo, s3
.LBB4_23:                               ;   in Loop: Header=BB4_9 Depth=2
	s_delay_alu instid0(SALU_CYCLE_1) | instskip(NEXT) | instid1(SALU_CYCLE_1)
	s_or_b32 exec_lo, exec_lo, s4
	s_mov_b32 s4, exec_lo
	v_cmpx_lt_i32_e64 v7, v21
	s_cbranch_execz .LBB4_31
; %bb.24:                               ;   in Loop: Header=BB4_9 Depth=2
	v_ashrrev_i32_e32 v8, 31, v7
	s_mov_b32 s37, 0
                                        ; implicit-def: $sgpr38
                                        ; implicit-def: $sgpr40
                                        ; implicit-def: $sgpr39
	s_delay_alu instid0(VALU_DEP_1) | instskip(NEXT) | instid1(VALU_DEP_1)
	v_lshlrev_b64 v[9:10], 2, v[7:8]
	v_add_co_u32 v9, vcc_lo, s20, v9
	s_delay_alu instid0(VALU_DEP_2)
	v_add_co_ci_u32_e32 v10, vcc_lo, s21, v10, vcc_lo
	s_set_inst_prefetch_distance 0x1
	s_branch .LBB4_26
	.p2align	6
.LBB4_25:                               ;   in Loop: Header=BB4_26 Depth=3
	s_or_b32 exec_lo, exec_lo, s41
	s_delay_alu instid0(SALU_CYCLE_1) | instskip(NEXT) | instid1(SALU_CYCLE_1)
	s_and_b32 s3, exec_lo, s40
	s_or_b32 s37, s3, s37
	s_and_not1_b32 s3, s38, exec_lo
	s_and_b32 s38, s39, exec_lo
	s_delay_alu instid0(SALU_CYCLE_1)
	s_or_b32 s38, s3, s38
	s_and_not1_b32 exec_lo, exec_lo, s37
	s_cbranch_execz .LBB4_28
.LBB4_26:                               ;   Parent Loop BB4_5 Depth=1
                                        ;     Parent Loop BB4_9 Depth=2
                                        ; =>    This Inner Loop Header: Depth=3
	global_load_b32 v13, v[9:10], off
	v_dual_mov_b32 v12, v8 :: v_dual_mov_b32 v11, v7
	s_or_b32 s39, s39, exec_lo
	s_or_b32 s40, s40, exec_lo
	s_mov_b32 s41, exec_lo
                                        ; implicit-def: $vgpr7_vgpr8
	s_waitcnt vmcnt(0)
	v_cmpx_ne_u32_e64 v13, v23
	s_cbranch_execz .LBB4_25
; %bb.27:                               ;   in Loop: Header=BB4_26 Depth=3
	v_add_co_u32 v7, vcc_lo, v11, 1
	v_add_co_ci_u32_e32 v8, vcc_lo, 0, v12, vcc_lo
	v_add_co_u32 v9, s3, v9, 4
	s_delay_alu instid0(VALU_DEP_3) | instskip(SKIP_4) | instid1(SALU_CYCLE_1)
	v_cmp_ge_i32_e32 vcc_lo, v7, v21
	v_add_co_ci_u32_e64 v10, s3, 0, v10, s3
	s_and_not1_b32 s3, s40, exec_lo
	s_and_not1_b32 s39, s39, exec_lo
	s_and_b32 s40, vcc_lo, exec_lo
	s_or_b32 s40, s3, s40
	s_branch .LBB4_25
.LBB4_28:                               ;   in Loop: Header=BB4_9 Depth=2
	s_set_inst_prefetch_distance 0x2
	s_or_b32 exec_lo, exec_lo, s37
	s_and_saveexec_b32 s3, s38
	s_delay_alu instid0(SALU_CYCLE_1)
	s_xor_b32 s3, exec_lo, s3
	s_cbranch_execz .LBB4_30
; %bb.29:                               ;   in Loop: Header=BB4_9 Depth=2
	v_lshlrev_b64 v[7:8], 2, v[11:12]
	s_delay_alu instid0(VALU_DEP_1) | instskip(NEXT) | instid1(VALU_DEP_2)
	v_add_co_u32 v7, vcc_lo, s14, v7
	v_add_co_ci_u32_e32 v8, vcc_lo, s15, v8, vcc_lo
	global_load_b32 v7, v[7:8], off
	s_waitcnt vmcnt(0)
	v_fmac_f32_e32 v26, v7, v4
.LBB4_30:                               ;   in Loop: Header=BB4_9 Depth=2
	s_or_b32 exec_lo, exec_lo, s3
.LBB4_31:                               ;   in Loop: Header=BB4_9 Depth=2
	s_delay_alu instid0(SALU_CYCLE_1) | instskip(SKIP_2) | instid1(VALU_DEP_1)
	s_or_b32 exec_lo, exec_lo, s4
	v_sub_f32_e32 v7, v24, v25
	s_waitcnt vmcnt(0)
	v_div_scale_f32 v8, null, v4, v4, v7
	s_delay_alu instid0(VALU_DEP_1) | instskip(SKIP_2) | instid1(VALU_DEP_1)
	v_rcp_f32_e32 v9, v8
	s_waitcnt_depctr 0xfff
	v_fma_f32 v10, -v8, v9, 1.0
	v_fmac_f32_e32 v9, v10, v9
	v_div_scale_f32 v10, vcc_lo, v7, v4, v7
	s_delay_alu instid0(VALU_DEP_1) | instskip(NEXT) | instid1(VALU_DEP_1)
	v_mul_f32_e32 v11, v10, v9
	v_fma_f32 v12, -v8, v11, v10
	s_delay_alu instid0(VALU_DEP_1) | instskip(NEXT) | instid1(VALU_DEP_1)
	v_fmac_f32_e32 v11, v12, v9
	v_fma_f32 v8, -v8, v11, v10
	s_delay_alu instid0(VALU_DEP_1) | instskip(SKIP_1) | instid1(VALU_DEP_2)
	v_div_fmas_f32 v8, v8, v9, v11
	v_cmp_gt_i32_e32 vcc_lo, v1, v3
	v_div_fixup_f32 v8, v8, v4, v7
	s_delay_alu instid0(VALU_DEP_1) | instskip(NEXT) | instid1(VALU_DEP_1)
	v_cndmask_b32_e32 v7, v7, v8, vcc_lo
	v_cmp_class_f32_e64 s4, v7, 0x1f8
	s_delay_alu instid0(VALU_DEP_1)
	s_and_saveexec_b32 s3, s4
	s_cbranch_execz .LBB4_8
; %bb.32:                               ;   in Loop: Header=BB4_9 Depth=2
	v_add_co_u32 v5, vcc_lo, s14, v5
	v_add_co_ci_u32_e32 v6, vcc_lo, s15, v6, vcc_lo
	global_store_b32 v[5:6], v7, off
	s_branch .LBB4_8
.LBB4_33:
	s_or_b32 exec_lo, exec_lo, s6
	v_mbcnt_lo_u32_b32 v1, -1, 0
	s_mov_b32 s2, exec_lo
	s_delay_alu instid0(VALU_DEP_1) | instskip(SKIP_1) | instid1(VALU_DEP_2)
	v_xor_b32_e32 v2, 2, v1
	v_xor_b32_e32 v3, 1, v1
	v_cmp_gt_i32_e32 vcc_lo, 32, v2
	v_cndmask_b32_e32 v2, v1, v2, vcc_lo
	s_delay_alu instid0(VALU_DEP_3) | instskip(NEXT) | instid1(VALU_DEP_2)
	v_cmp_gt_i32_e32 vcc_lo, 32, v3
	v_dual_cndmask_b32 v3, v1, v3 :: v_dual_lshlrev_b32 v2, 2, v2
	ds_bpermute_b32 v2, v2, v18
	s_waitcnt lgkmcnt(0)
	v_cmp_lt_f32_e32 vcc_lo, v18, v2
	v_dual_cndmask_b32 v1, v18, v2 :: v_dual_lshlrev_b32 v2, 2, v3
	ds_bpermute_b32 v2, v2, v1
	v_cmpx_eq_u32_e32 3, v16
	s_cbranch_execz .LBB4_35
; %bb.34:
	s_waitcnt lgkmcnt(0)
	v_cmp_lt_f32_e32 vcc_lo, v1, v2
	v_lshlrev_b32_e32 v3, 2, v15
	v_cndmask_b32_e32 v1, v1, v2, vcc_lo
	ds_store_b32 v3, v1
.LBB4_35:
	s_or_b32 exec_lo, exec_lo, s2
	v_lshlrev_b32_e32 v1, 2, v0
	s_mov_b32 s2, exec_lo
	s_waitcnt lgkmcnt(0)
	s_waitcnt_vscnt null, 0x0
	s_barrier
	buffer_gl0_inv
	v_cmpx_gt_u32_e32 0x80, v0
	s_cbranch_execz .LBB4_37
; %bb.36:
	ds_load_2addr_stride64_b32 v[2:3], v1 offset1:2
	s_waitcnt lgkmcnt(0)
	v_cmp_lt_f32_e32 vcc_lo, v2, v3
	v_cndmask_b32_e32 v2, v2, v3, vcc_lo
	ds_store_b32 v1, v2
.LBB4_37:
	s_or_b32 exec_lo, exec_lo, s2
	s_delay_alu instid0(SALU_CYCLE_1)
	s_mov_b32 s2, exec_lo
	s_waitcnt lgkmcnt(0)
	s_barrier
	buffer_gl0_inv
	v_cmpx_gt_u32_e32 64, v0
	s_cbranch_execz .LBB4_39
; %bb.38:
	ds_load_2addr_stride64_b32 v[2:3], v1 offset1:1
	s_waitcnt lgkmcnt(0)
	v_cmp_lt_f32_e32 vcc_lo, v2, v3
	v_cndmask_b32_e32 v2, v2, v3, vcc_lo
	ds_store_b32 v1, v2
.LBB4_39:
	s_or_b32 exec_lo, exec_lo, s2
	s_delay_alu instid0(SALU_CYCLE_1)
	s_mov_b32 s2, exec_lo
	s_waitcnt lgkmcnt(0)
	s_barrier
	buffer_gl0_inv
	v_cmpx_gt_u32_e32 32, v0
	s_cbranch_execz .LBB4_41
; %bb.40:
	ds_load_2addr_b32 v[2:3], v1 offset1:32
	s_waitcnt lgkmcnt(0)
	v_cmp_lt_f32_e32 vcc_lo, v2, v3
	v_cndmask_b32_e32 v2, v2, v3, vcc_lo
	ds_store_b32 v1, v2
.LBB4_41:
	s_or_b32 exec_lo, exec_lo, s2
	s_delay_alu instid0(SALU_CYCLE_1)
	s_mov_b32 s2, exec_lo
	s_waitcnt lgkmcnt(0)
	s_barrier
	buffer_gl0_inv
	v_cmpx_gt_u32_e32 16, v0
	s_cbranch_execz .LBB4_43
; %bb.42:
	ds_load_2addr_b32 v[2:3], v1 offset1:16
	s_waitcnt lgkmcnt(0)
	v_cmp_lt_f32_e32 vcc_lo, v2, v3
	v_cndmask_b32_e32 v2, v2, v3, vcc_lo
	ds_store_b32 v1, v2
.LBB4_43:
	;; [unrolled: 15-line block ×5, first 2 shown]
	s_or_b32 exec_lo, exec_lo, s2
	v_cmp_eq_u32_e32 vcc_lo, 0, v0
	s_waitcnt lgkmcnt(0)
	s_barrier
	buffer_gl0_inv
	s_and_saveexec_b32 s3, vcc_lo
	s_cbranch_execz .LBB4_51
; %bb.50:
	v_mov_b32_e32 v2, 0
	ds_load_b64 v[0:1], v2
	s_waitcnt lgkmcnt(0)
	v_cmp_lt_f32_e64 s2, v0, v1
	s_delay_alu instid0(VALU_DEP_1)
	v_cndmask_b32_e64 v0, v0, v1, s2
	ds_store_b32 v2, v0
.LBB4_51:
	s_or_b32 exec_lo, exec_lo, s3
	s_waitcnt lgkmcnt(0)
	s_barrier
	buffer_gl0_inv
	s_and_saveexec_b32 s2, vcc_lo
	s_cbranch_execz .LBB4_56
; %bb.52:
	s_load_b128 s[4:7], s[0:1], 0x70
	v_mov_b32_e32 v2, 0
	s_mov_b32 s1, 0
                                        ; implicit-def: $sgpr2
                                        ; implicit-def: $sgpr3
	ds_load_b32 v0, v2
	s_waitcnt lgkmcnt(0)
	s_load_b32 s0, s[6:7], 0x0
	s_waitcnt lgkmcnt(0)
	v_div_scale_f32 v3, null, s0, s0, v0
	v_div_scale_f32 v6, vcc_lo, v0, s0, v0
	s_delay_alu instid0(VALU_DEP_2) | instskip(SKIP_2) | instid1(VALU_DEP_1)
	v_rcp_f32_e32 v4, v3
	s_waitcnt_depctr 0xfff
	v_fma_f32 v5, -v3, v4, 1.0
	v_fmac_f32_e32 v4, v5, v4
	s_delay_alu instid0(VALU_DEP_1) | instskip(SKIP_2) | instid1(VALU_DEP_1)
	v_mul_f32_e32 v5, v6, v4
	global_load_b32 v1, v2, s[4:5] glc
	v_fma_f32 v7, -v3, v5, v6
	v_fmac_f32_e32 v5, v7, v4
	s_delay_alu instid0(VALU_DEP_1) | instskip(NEXT) | instid1(VALU_DEP_1)
	v_fma_f32 v3, -v3, v5, v6
	v_div_fmas_f32 v3, v3, v4, v5
	s_delay_alu instid0(VALU_DEP_1) | instskip(NEXT) | instid1(VALU_DEP_1)
	v_div_fixup_f32 v0, v3, s0, v0
	v_cmp_eq_f32_e32 vcc_lo, 0, v0
	s_waitcnt vmcnt(0)
	v_cmp_eq_u32_e64 s6, 0x80000000, v1
	s_set_inst_prefetch_distance 0x1
	s_branch .LBB4_54
	.p2align	6
.LBB4_53:                               ;   in Loop: Header=BB4_54 Depth=1
	s_or_b32 exec_lo, exec_lo, s7
	s_delay_alu instid0(SALU_CYCLE_1) | instskip(NEXT) | instid1(SALU_CYCLE_1)
	s_and_b32 s0, exec_lo, s2
	s_or_b32 s1, s0, s1
	s_and_not1_b32 s0, s6, exec_lo
	s_and_b32 s6, s3, exec_lo
	s_delay_alu instid0(SALU_CYCLE_1)
	s_or_b32 s6, s0, s6
	s_and_not1_b32 exec_lo, exec_lo, s1
	s_cbranch_execz .LBB4_56
.LBB4_54:                               ; =>This Inner Loop Header: Depth=1
	v_cmp_lt_f32_e64 s0, v1, v0
	s_delay_alu instid0(VALU_DEP_2) | instskip(SKIP_2) | instid1(VALU_DEP_1)
	s_and_b32 s7, vcc_lo, s6
	s_and_not1_b32 s3, s3, exec_lo
	s_or_b32 s2, s2, exec_lo
	s_or_b32 s0, s0, s7
	s_delay_alu instid0(SALU_CYCLE_1)
	s_and_saveexec_b32 s7, s0
	s_cbranch_execz .LBB4_53
; %bb.55:                               ;   in Loop: Header=BB4_54 Depth=1
	global_atomic_cmpswap_b32 v3, v2, v[0:1], s[4:5] glc
	s_and_not1_b32 s3, s3, exec_lo
	s_and_not1_b32 s2, s2, exec_lo
	s_waitcnt vmcnt(0)
	v_cmp_eq_u32_e64 s0, v3, v1
	s_delay_alu instid0(VALU_DEP_1) | instskip(SKIP_1) | instid1(SALU_CYCLE_1)
	v_cndmask_b32_e64 v1, v3, v1, s0
	s_and_b32 s0, s0, exec_lo
	s_or_b32 s2, s2, s0
	s_delay_alu instid0(VALU_DEP_1) | instskip(SKIP_1) | instid1(VALU_DEP_2)
	v_cmp_class_f32_e64 s6, v1, 32
	v_mov_b32_e32 v1, v3
	s_and_b32 s6, s6, exec_lo
	s_delay_alu instid0(SALU_CYCLE_1)
	s_or_b32 s3, s3, s6
                                        ; implicit-def: $sgpr6
	s_branch .LBB4_53
.LBB4_56:
	s_set_inst_prefetch_distance 0x2
	s_endpgm
	.section	.rodata,"a",@progbits
	.p2align	6, 0x0
	.amdhsa_kernel _ZN9rocsparseL16kernel_calculateILi1024ELi4ELb1EfiiEEvT4_T3_PKS2_S4_PKS1_PKT2_21rocsparse_index_base_S4_S4_S6_S4_S4_S6_S4_PS7_PNS_15floating_traitsIS7_E6data_tEPKSE_
		.amdhsa_group_segment_fixed_size 1024
		.amdhsa_private_segment_fixed_size 0
		.amdhsa_kernarg_size 128
		.amdhsa_user_sgpr_count 15
		.amdhsa_user_sgpr_dispatch_ptr 0
		.amdhsa_user_sgpr_queue_ptr 0
		.amdhsa_user_sgpr_kernarg_segment_ptr 1
		.amdhsa_user_sgpr_dispatch_id 0
		.amdhsa_user_sgpr_private_segment_size 0
		.amdhsa_wavefront_size32 1
		.amdhsa_uses_dynamic_stack 0
		.amdhsa_enable_private_segment 0
		.amdhsa_system_sgpr_workgroup_id_x 1
		.amdhsa_system_sgpr_workgroup_id_y 0
		.amdhsa_system_sgpr_workgroup_id_z 0
		.amdhsa_system_sgpr_workgroup_info 0
		.amdhsa_system_vgpr_workitem_id 0
		.amdhsa_next_free_vgpr 32
		.amdhsa_next_free_sgpr 42
		.amdhsa_reserve_vcc 1
		.amdhsa_float_round_mode_32 0
		.amdhsa_float_round_mode_16_64 0
		.amdhsa_float_denorm_mode_32 3
		.amdhsa_float_denorm_mode_16_64 3
		.amdhsa_dx10_clamp 1
		.amdhsa_ieee_mode 1
		.amdhsa_fp16_overflow 0
		.amdhsa_workgroup_processor_mode 1
		.amdhsa_memory_ordered 1
		.amdhsa_forward_progress 0
		.amdhsa_shared_vgpr_count 0
		.amdhsa_exception_fp_ieee_invalid_op 0
		.amdhsa_exception_fp_denorm_src 0
		.amdhsa_exception_fp_ieee_div_zero 0
		.amdhsa_exception_fp_ieee_overflow 0
		.amdhsa_exception_fp_ieee_underflow 0
		.amdhsa_exception_fp_ieee_inexact 0
		.amdhsa_exception_int_div_zero 0
	.end_amdhsa_kernel
	.section	.text._ZN9rocsparseL16kernel_calculateILi1024ELi4ELb1EfiiEEvT4_T3_PKS2_S4_PKS1_PKT2_21rocsparse_index_base_S4_S4_S6_S4_S4_S6_S4_PS7_PNS_15floating_traitsIS7_E6data_tEPKSE_,"axG",@progbits,_ZN9rocsparseL16kernel_calculateILi1024ELi4ELb1EfiiEEvT4_T3_PKS2_S4_PKS1_PKT2_21rocsparse_index_base_S4_S4_S6_S4_S4_S6_S4_PS7_PNS_15floating_traitsIS7_E6data_tEPKSE_,comdat
.Lfunc_end4:
	.size	_ZN9rocsparseL16kernel_calculateILi1024ELi4ELb1EfiiEEvT4_T3_PKS2_S4_PKS1_PKT2_21rocsparse_index_base_S4_S4_S6_S4_S4_S6_S4_PS7_PNS_15floating_traitsIS7_E6data_tEPKSE_, .Lfunc_end4-_ZN9rocsparseL16kernel_calculateILi1024ELi4ELb1EfiiEEvT4_T3_PKS2_S4_PKS1_PKT2_21rocsparse_index_base_S4_S4_S6_S4_S4_S6_S4_PS7_PNS_15floating_traitsIS7_E6data_tEPKSE_
                                        ; -- End function
	.section	.AMDGPU.csdata,"",@progbits
; Kernel info:
; codeLenInByte = 2736
; NumSgprs: 44
; NumVgprs: 32
; ScratchSize: 0
; MemoryBound: 0
; FloatMode: 240
; IeeeMode: 1
; LDSByteSize: 1024 bytes/workgroup (compile time only)
; SGPRBlocks: 5
; VGPRBlocks: 3
; NumSGPRsForWavesPerEU: 44
; NumVGPRsForWavesPerEU: 32
; Occupancy: 16
; WaveLimiterHint : 1
; COMPUTE_PGM_RSRC2:SCRATCH_EN: 0
; COMPUTE_PGM_RSRC2:USER_SGPR: 15
; COMPUTE_PGM_RSRC2:TRAP_HANDLER: 0
; COMPUTE_PGM_RSRC2:TGID_X_EN: 1
; COMPUTE_PGM_RSRC2:TGID_Y_EN: 0
; COMPUTE_PGM_RSRC2:TGID_Z_EN: 0
; COMPUTE_PGM_RSRC2:TIDIG_COMP_CNT: 0
	.section	.text._ZN9rocsparseL16kernel_calculateILi1024ELi8ELb1EfiiEEvT4_T3_PKS2_S4_PKS1_PKT2_21rocsparse_index_base_S4_S4_S6_S4_S4_S6_S4_PS7_PNS_15floating_traitsIS7_E6data_tEPKSE_,"axG",@progbits,_ZN9rocsparseL16kernel_calculateILi1024ELi8ELb1EfiiEEvT4_T3_PKS2_S4_PKS1_PKT2_21rocsparse_index_base_S4_S4_S6_S4_S4_S6_S4_PS7_PNS_15floating_traitsIS7_E6data_tEPKSE_,comdat
	.globl	_ZN9rocsparseL16kernel_calculateILi1024ELi8ELb1EfiiEEvT4_T3_PKS2_S4_PKS1_PKT2_21rocsparse_index_base_S4_S4_S6_S4_S4_S6_S4_PS7_PNS_15floating_traitsIS7_E6data_tEPKSE_ ; -- Begin function _ZN9rocsparseL16kernel_calculateILi1024ELi8ELb1EfiiEEvT4_T3_PKS2_S4_PKS1_PKT2_21rocsparse_index_base_S4_S4_S6_S4_S4_S6_S4_PS7_PNS_15floating_traitsIS7_E6data_tEPKSE_
	.p2align	8
	.type	_ZN9rocsparseL16kernel_calculateILi1024ELi8ELb1EfiiEEvT4_T3_PKS2_S4_PKS1_PKT2_21rocsparse_index_base_S4_S4_S6_S4_S4_S6_S4_PS7_PNS_15floating_traitsIS7_E6data_tEPKSE_,@function
_ZN9rocsparseL16kernel_calculateILi1024ELi8ELb1EfiiEEvT4_T3_PKS2_S4_PKS1_PKT2_21rocsparse_index_base_S4_S4_S6_S4_S4_S6_S4_PS7_PNS_15floating_traitsIS7_E6data_tEPKSE_: ; @_ZN9rocsparseL16kernel_calculateILi1024ELi8ELb1EfiiEEvT4_T3_PKS2_S4_PKS1_PKT2_21rocsparse_index_base_S4_S4_S6_S4_S4_S6_S4_PS7_PNS_15floating_traitsIS7_E6data_tEPKSE_
; %bb.0:
	s_load_b32 s5, s[0:1], 0x0
	v_lshrrev_b32_e32 v15, 3, v0
	v_and_b32_e32 v16, 7, v0
	v_mov_b32_e32 v18, 0
	s_mov_b32 s6, exec_lo
	s_delay_alu instid0(VALU_DEP_3) | instskip(SKIP_1) | instid1(VALU_DEP_1)
	v_lshl_or_b32 v17, s15, 10, v15
	s_waitcnt lgkmcnt(0)
	v_cmpx_gt_i32_e64 s5, v17
	s_cbranch_execz .LBB5_33
; %bb.1:
	s_clause 0x3
	s_load_b32 s7, s[0:1], 0x28
	s_load_b256 s[8:15], s[0:1], 0x50
	s_load_b256 s[16:23], s[0:1], 0x30
	s_load_b256 s[24:31], s[0:1], 0x8
	v_mov_b32_e32 v18, 0
	s_mov_b32 s33, 0
	s_waitcnt lgkmcnt(0)
	v_subrev_nc_u32_e32 v19, s7, v16
	s_branch .LBB5_5
.LBB5_2:                                ;   in Loop: Header=BB5_5 Depth=1
	s_or_b32 exec_lo, exec_lo, s36
.LBB5_3:                                ;   in Loop: Header=BB5_5 Depth=1
	s_delay_alu instid0(SALU_CYCLE_1)
	s_or_b32 exec_lo, exec_lo, s35
.LBB5_4:                                ;   in Loop: Header=BB5_5 Depth=1
	s_delay_alu instid0(SALU_CYCLE_1) | instskip(SKIP_1) | instid1(SALU_CYCLE_1)
	s_or_b32 exec_lo, exec_lo, s34
	s_add_i32 s33, s33, 1
	s_cmp_lg_u32 s33, 8
	s_cbranch_scc0 .LBB5_33
.LBB5_5:                                ; =>This Loop Header: Depth=1
                                        ;     Child Loop BB5_9 Depth 2
                                        ;       Child Loop BB5_12 Depth 3
                                        ;       Child Loop BB5_18 Depth 3
	;; [unrolled: 1-line block ×3, first 2 shown]
	v_lshl_add_u32 v1, s33, 7, v17
	s_mov_b32 s34, exec_lo
	s_delay_alu instid0(VALU_DEP_1)
	v_cmpx_gt_i32_e64 s5, v1
	s_cbranch_execz .LBB5_4
; %bb.6:                                ;   in Loop: Header=BB5_5 Depth=1
	v_ashrrev_i32_e32 v2, 31, v1
	s_mov_b32 s35, exec_lo
	s_delay_alu instid0(VALU_DEP_1) | instskip(NEXT) | instid1(VALU_DEP_1)
	v_lshlrev_b64 v[3:4], 2, v[1:2]
	v_add_co_u32 v5, vcc_lo, s26, v3
	s_delay_alu instid0(VALU_DEP_2)
	v_add_co_ci_u32_e32 v6, vcc_lo, s27, v4, vcc_lo
	v_add_co_u32 v7, vcc_lo, s24, v3
	v_add_co_ci_u32_e32 v8, vcc_lo, s25, v4, vcc_lo
	global_load_b32 v2, v[5:6], off
	global_load_b32 v5, v[7:8], off
	s_waitcnt vmcnt(1)
	v_subrev_nc_u32_e32 v20, s7, v2
	s_waitcnt vmcnt(0)
	v_add_nc_u32_e32 v2, v19, v5
	s_delay_alu instid0(VALU_DEP_1)
	v_cmpx_lt_i32_e64 v2, v20
	s_cbranch_execz .LBB5_3
; %bb.7:                                ;   in Loop: Header=BB5_5 Depth=1
	v_add_co_u32 v5, vcc_lo, s18, v3
	v_add_co_ci_u32_e32 v6, vcc_lo, s19, v4, vcc_lo
	v_add_co_u32 v3, vcc_lo, s16, v3
	v_add_co_ci_u32_e32 v4, vcc_lo, s17, v4, vcc_lo
	s_mov_b32 s36, 0
	global_load_b32 v5, v[5:6], off
	global_load_b32 v3, v[3:4], off
	s_waitcnt vmcnt(1)
	v_subrev_nc_u32_e32 v21, s7, v5
	s_waitcnt vmcnt(0)
	v_subrev_nc_u32_e32 v22, s7, v3
	v_cmp_lt_i32_e64 s2, v3, v5
	s_branch .LBB5_9
.LBB5_8:                                ;   in Loop: Header=BB5_9 Depth=2
	s_or_b32 exec_lo, exec_lo, s3
	v_add_f32_e32 v4, v4, v26
	v_cmp_eq_u32_e32 vcc_lo, v1, v3
	s_delay_alu instid0(VALU_DEP_2) | instskip(NEXT) | instid1(VALU_DEP_1)
	v_dual_cndmask_b32 v3, v26, v4 :: v_dual_add_nc_u32 v2, 8, v2
	v_cmp_ge_i32_e64 s4, v2, v20
	s_delay_alu instid0(VALU_DEP_2) | instskip(NEXT) | instid1(VALU_DEP_1)
	v_and_b32_e32 v3, 0x7fffffff, v3
	v_cmp_nlg_f32_e32 vcc_lo, 0x7f800000, v3
	v_cmp_gt_f32_e64 s3, v18, v3
	s_delay_alu instid0(VALU_DEP_1)
	s_or_b32 vcc_lo, vcc_lo, s3
	s_or_b32 s36, s4, s36
	v_cndmask_b32_e32 v18, v3, v18, vcc_lo
	s_and_not1_b32 exec_lo, exec_lo, s36
	s_cbranch_execz .LBB5_2
.LBB5_9:                                ;   Parent Loop BB5_5 Depth=1
                                        ; =>  This Loop Header: Depth=2
                                        ;       Child Loop BB5_12 Depth 3
                                        ;       Child Loop BB5_18 Depth 3
	;; [unrolled: 1-line block ×3, first 2 shown]
	v_ashrrev_i32_e32 v3, 31, v2
	v_mov_b32_e32 v25, 0
	s_delay_alu instid0(VALU_DEP_2) | instskip(NEXT) | instid1(VALU_DEP_1)
	v_lshlrev_b64 v[5:6], 2, v[2:3]
	v_add_co_u32 v3, vcc_lo, s28, v5
	s_delay_alu instid0(VALU_DEP_2) | instskip(SKIP_3) | instid1(VALU_DEP_1)
	v_add_co_ci_u32_e32 v4, vcc_lo, s29, v6, vcc_lo
	global_load_b32 v23, v[3:4], off
	s_waitcnt vmcnt(0)
	v_subrev_nc_u32_e32 v3, s7, v23
	v_ashrrev_i32_e32 v4, 31, v3
	s_delay_alu instid0(VALU_DEP_1) | instskip(NEXT) | instid1(VALU_DEP_1)
	v_lshlrev_b64 v[7:8], 2, v[3:4]
	v_add_co_u32 v9, vcc_lo, s18, v7
	s_delay_alu instid0(VALU_DEP_2)
	v_add_co_ci_u32_e32 v10, vcc_lo, s19, v8, vcc_lo
	v_add_co_u32 v11, vcc_lo, s8, v7
	v_add_co_ci_u32_e32 v12, vcc_lo, s9, v8, vcc_lo
	global_load_b32 v4, v[9:10], off
	v_add_co_u32 v7, vcc_lo, s22, v7
	v_add_co_ci_u32_e32 v8, vcc_lo, s23, v8, vcc_lo
	v_add_co_u32 v13, vcc_lo, s30, v5
	v_add_co_ci_u32_e32 v14, vcc_lo, s31, v6, vcc_lo
	global_load_b32 v11, v[11:12], off
	global_load_b32 v12, v[7:8], off
	s_waitcnt vmcnt(2)
	v_subrev_nc_u32_e32 v9, s7, v4
	s_delay_alu instid0(VALU_DEP_1) | instskip(SKIP_2) | instid1(VALU_DEP_2)
	v_ashrrev_i32_e32 v10, 31, v9
	s_waitcnt vmcnt(1)
	v_subrev_nc_u32_e32 v27, s7, v11
	v_lshlrev_b64 v[9:10], 2, v[9:10]
	s_delay_alu instid0(VALU_DEP_1) | instskip(NEXT) | instid1(VALU_DEP_2)
	v_add_co_u32 v7, vcc_lo, s14, v9
	v_add_co_ci_u32_e32 v8, vcc_lo, s15, v10, vcc_lo
	s_waitcnt vmcnt(0)
	v_cmp_lt_i32_e32 vcc_lo, v12, v11
	global_load_b32 v24, v[13:14], off
	global_load_b32 v4, v[7:8], off
	v_subrev_nc_u32_e32 v9, s7, v12
	v_mov_b32_e32 v7, v22
	s_and_b32 s3, s2, vcc_lo
	s_delay_alu instid0(SALU_CYCLE_1)
	s_and_saveexec_b32 s4, s3
	s_cbranch_execz .LBB5_15
; %bb.10:                               ;   in Loop: Header=BB5_9 Depth=2
	v_mov_b32_e32 v25, 0
	v_mov_b32_e32 v7, v22
	s_mov_b32 s37, 0
	s_branch .LBB5_12
.LBB5_11:                               ;   in Loop: Header=BB5_12 Depth=3
	s_or_b32 exec_lo, exec_lo, s3
	v_cmp_le_i32_e32 vcc_lo, v8, v10
	v_add_co_ci_u32_e32 v7, vcc_lo, 0, v7, vcc_lo
	v_cmp_ge_i32_e32 vcc_lo, v8, v10
	v_add_co_ci_u32_e32 v9, vcc_lo, 0, v9, vcc_lo
	s_delay_alu instid0(VALU_DEP_3) | instskip(NEXT) | instid1(VALU_DEP_2)
	v_cmp_ge_i32_e32 vcc_lo, v7, v21
	v_cmp_ge_i32_e64 s3, v9, v27
	s_delay_alu instid0(VALU_DEP_1) | instskip(NEXT) | instid1(SALU_CYCLE_1)
	s_or_b32 s3, vcc_lo, s3
	s_and_b32 s3, exec_lo, s3
	s_delay_alu instid0(SALU_CYCLE_1) | instskip(NEXT) | instid1(SALU_CYCLE_1)
	s_or_b32 s37, s3, s37
	s_and_not1_b32 exec_lo, exec_lo, s37
	s_cbranch_execz .LBB5_14
.LBB5_12:                               ;   Parent Loop BB5_5 Depth=1
                                        ;     Parent Loop BB5_9 Depth=2
                                        ; =>    This Inner Loop Header: Depth=3
	s_delay_alu instid0(VALU_DEP_1) | instskip(SKIP_2) | instid1(VALU_DEP_2)
	v_ashrrev_i32_e32 v8, 31, v7
	v_ashrrev_i32_e32 v10, 31, v9
	s_mov_b32 s3, exec_lo
	v_lshlrev_b64 v[11:12], 2, v[7:8]
	s_delay_alu instid0(VALU_DEP_2) | instskip(NEXT) | instid1(VALU_DEP_2)
	v_lshlrev_b64 v[13:14], 2, v[9:10]
	v_add_co_u32 v28, vcc_lo, s20, v11
	s_delay_alu instid0(VALU_DEP_3) | instskip(NEXT) | instid1(VALU_DEP_3)
	v_add_co_ci_u32_e32 v29, vcc_lo, s21, v12, vcc_lo
	v_add_co_u32 v30, vcc_lo, s10, v13
	s_delay_alu instid0(VALU_DEP_4)
	v_add_co_ci_u32_e32 v31, vcc_lo, s11, v14, vcc_lo
	global_load_b32 v8, v[28:29], off
	global_load_b32 v10, v[30:31], off
	s_waitcnt vmcnt(0)
	v_cmpx_eq_u32_e64 v8, v10
	s_cbranch_execz .LBB5_11
; %bb.13:                               ;   in Loop: Header=BB5_12 Depth=3
	v_add_co_u32 v13, vcc_lo, s12, v13
	v_add_co_ci_u32_e32 v14, vcc_lo, s13, v14, vcc_lo
	v_add_co_u32 v11, vcc_lo, s14, v11
	v_add_co_ci_u32_e32 v12, vcc_lo, s15, v12, vcc_lo
	global_load_b32 v13, v[13:14], off
	s_waitcnt vmcnt(0)
	v_ashrrev_i32_e32 v14, 31, v13
	s_delay_alu instid0(VALU_DEP_1) | instskip(NEXT) | instid1(VALU_DEP_1)
	v_lshlrev_b64 v[13:14], 2, v[13:14]
	v_add_co_u32 v13, vcc_lo, s14, v13
	s_delay_alu instid0(VALU_DEP_2)
	v_add_co_ci_u32_e32 v14, vcc_lo, s15, v14, vcc_lo
	s_clause 0x1
	global_load_b32 v11, v[11:12], off
	global_load_b32 v12, v[13:14], off
	s_waitcnt vmcnt(0)
	v_fmac_f32_e32 v25, v11, v12
	s_branch .LBB5_11
.LBB5_14:                               ;   in Loop: Header=BB5_9 Depth=2
	s_or_b32 exec_lo, exec_lo, s37
.LBB5_15:                               ;   in Loop: Header=BB5_9 Depth=2
	s_delay_alu instid0(SALU_CYCLE_1)
	s_or_b32 exec_lo, exec_lo, s4
	s_waitcnt vmcnt(1)
	v_sub_f32_e32 v26, v25, v24
	s_mov_b32 s4, exec_lo
	v_cmpx_lt_i32_e64 v9, v27
	s_cbranch_execz .LBB5_23
; %bb.16:                               ;   in Loop: Header=BB5_9 Depth=2
	v_ashrrev_i32_e32 v10, 31, v9
	s_mov_b32 s37, 0
                                        ; implicit-def: $sgpr38
                                        ; implicit-def: $sgpr40
                                        ; implicit-def: $sgpr39
	s_delay_alu instid0(VALU_DEP_1) | instskip(NEXT) | instid1(VALU_DEP_1)
	v_lshlrev_b64 v[11:12], 2, v[9:10]
	v_add_co_u32 v11, vcc_lo, s10, v11
	s_delay_alu instid0(VALU_DEP_2)
	v_add_co_ci_u32_e32 v12, vcc_lo, s11, v12, vcc_lo
	s_set_inst_prefetch_distance 0x1
	s_branch .LBB5_18
	.p2align	6
.LBB5_17:                               ;   in Loop: Header=BB5_18 Depth=3
	s_or_b32 exec_lo, exec_lo, s41
	s_delay_alu instid0(SALU_CYCLE_1) | instskip(NEXT) | instid1(SALU_CYCLE_1)
	s_and_b32 s3, exec_lo, s40
	s_or_b32 s37, s3, s37
	s_and_not1_b32 s3, s38, exec_lo
	s_and_b32 s38, s39, exec_lo
	s_delay_alu instid0(SALU_CYCLE_1)
	s_or_b32 s38, s3, s38
	s_and_not1_b32 exec_lo, exec_lo, s37
	s_cbranch_execz .LBB5_20
.LBB5_18:                               ;   Parent Loop BB5_5 Depth=1
                                        ;     Parent Loop BB5_9 Depth=2
                                        ; =>    This Inner Loop Header: Depth=3
	global_load_b32 v8, v[11:12], off
	v_dual_mov_b32 v14, v10 :: v_dual_mov_b32 v13, v9
	s_or_b32 s39, s39, exec_lo
	s_or_b32 s40, s40, exec_lo
	s_mov_b32 s41, exec_lo
                                        ; implicit-def: $vgpr9_vgpr10
	s_waitcnt vmcnt(0)
	v_subrev_nc_u32_e32 v8, s7, v8
	s_delay_alu instid0(VALU_DEP_1)
	v_cmpx_ne_u32_e64 v8, v1
	s_cbranch_execz .LBB5_17
; %bb.19:                               ;   in Loop: Header=BB5_18 Depth=3
	v_add_co_u32 v9, vcc_lo, v13, 1
	v_add_co_ci_u32_e32 v10, vcc_lo, 0, v14, vcc_lo
	v_add_co_u32 v11, s3, v11, 4
	s_delay_alu instid0(VALU_DEP_3) | instskip(SKIP_4) | instid1(SALU_CYCLE_1)
	v_cmp_ge_i32_e32 vcc_lo, v9, v27
	v_add_co_ci_u32_e64 v12, s3, 0, v12, s3
	s_and_not1_b32 s3, s40, exec_lo
	s_and_not1_b32 s39, s39, exec_lo
	s_and_b32 s40, vcc_lo, exec_lo
	s_or_b32 s40, s3, s40
	s_branch .LBB5_17
.LBB5_20:                               ;   in Loop: Header=BB5_9 Depth=2
	s_set_inst_prefetch_distance 0x2
	s_or_b32 exec_lo, exec_lo, s37
	s_and_saveexec_b32 s3, s38
	s_delay_alu instid0(SALU_CYCLE_1)
	s_xor_b32 s3, exec_lo, s3
	s_cbranch_execz .LBB5_22
; %bb.21:                               ;   in Loop: Header=BB5_9 Depth=2
	v_lshlrev_b64 v[8:9], 2, v[13:14]
	s_delay_alu instid0(VALU_DEP_1) | instskip(NEXT) | instid1(VALU_DEP_2)
	v_add_co_u32 v8, vcc_lo, s12, v8
	v_add_co_ci_u32_e32 v9, vcc_lo, s13, v9, vcc_lo
	global_load_b32 v8, v[8:9], off
	s_waitcnt vmcnt(0)
	v_ashrrev_i32_e32 v9, 31, v8
	s_delay_alu instid0(VALU_DEP_1) | instskip(NEXT) | instid1(VALU_DEP_1)
	v_lshlrev_b64 v[8:9], 2, v[8:9]
	v_add_co_u32 v8, vcc_lo, s14, v8
	s_delay_alu instid0(VALU_DEP_2)
	v_add_co_ci_u32_e32 v9, vcc_lo, s15, v9, vcc_lo
	global_load_b32 v8, v[8:9], off
	s_waitcnt vmcnt(0)
	v_add_f32_e32 v26, v26, v8
.LBB5_22:                               ;   in Loop: Header=BB5_9 Depth=2
	s_or_b32 exec_lo, exec_lo, s3
.LBB5_23:                               ;   in Loop: Header=BB5_9 Depth=2
	s_delay_alu instid0(SALU_CYCLE_1) | instskip(NEXT) | instid1(SALU_CYCLE_1)
	s_or_b32 exec_lo, exec_lo, s4
	s_mov_b32 s4, exec_lo
	v_cmpx_lt_i32_e64 v7, v21
	s_cbranch_execz .LBB5_31
; %bb.24:                               ;   in Loop: Header=BB5_9 Depth=2
	v_ashrrev_i32_e32 v8, 31, v7
	s_mov_b32 s37, 0
                                        ; implicit-def: $sgpr38
                                        ; implicit-def: $sgpr40
                                        ; implicit-def: $sgpr39
	s_delay_alu instid0(VALU_DEP_1) | instskip(NEXT) | instid1(VALU_DEP_1)
	v_lshlrev_b64 v[9:10], 2, v[7:8]
	v_add_co_u32 v9, vcc_lo, s20, v9
	s_delay_alu instid0(VALU_DEP_2)
	v_add_co_ci_u32_e32 v10, vcc_lo, s21, v10, vcc_lo
	s_set_inst_prefetch_distance 0x1
	s_branch .LBB5_26
	.p2align	6
.LBB5_25:                               ;   in Loop: Header=BB5_26 Depth=3
	s_or_b32 exec_lo, exec_lo, s41
	s_delay_alu instid0(SALU_CYCLE_1) | instskip(NEXT) | instid1(SALU_CYCLE_1)
	s_and_b32 s3, exec_lo, s40
	s_or_b32 s37, s3, s37
	s_and_not1_b32 s3, s38, exec_lo
	s_and_b32 s38, s39, exec_lo
	s_delay_alu instid0(SALU_CYCLE_1)
	s_or_b32 s38, s3, s38
	s_and_not1_b32 exec_lo, exec_lo, s37
	s_cbranch_execz .LBB5_28
.LBB5_26:                               ;   Parent Loop BB5_5 Depth=1
                                        ;     Parent Loop BB5_9 Depth=2
                                        ; =>    This Inner Loop Header: Depth=3
	global_load_b32 v13, v[9:10], off
	v_dual_mov_b32 v12, v8 :: v_dual_mov_b32 v11, v7
	s_or_b32 s39, s39, exec_lo
	s_or_b32 s40, s40, exec_lo
	s_mov_b32 s41, exec_lo
                                        ; implicit-def: $vgpr7_vgpr8
	s_waitcnt vmcnt(0)
	v_cmpx_ne_u32_e64 v13, v23
	s_cbranch_execz .LBB5_25
; %bb.27:                               ;   in Loop: Header=BB5_26 Depth=3
	v_add_co_u32 v7, vcc_lo, v11, 1
	v_add_co_ci_u32_e32 v8, vcc_lo, 0, v12, vcc_lo
	v_add_co_u32 v9, s3, v9, 4
	s_delay_alu instid0(VALU_DEP_3) | instskip(SKIP_4) | instid1(SALU_CYCLE_1)
	v_cmp_ge_i32_e32 vcc_lo, v7, v21
	v_add_co_ci_u32_e64 v10, s3, 0, v10, s3
	s_and_not1_b32 s3, s40, exec_lo
	s_and_not1_b32 s39, s39, exec_lo
	s_and_b32 s40, vcc_lo, exec_lo
	s_or_b32 s40, s3, s40
	s_branch .LBB5_25
.LBB5_28:                               ;   in Loop: Header=BB5_9 Depth=2
	s_set_inst_prefetch_distance 0x2
	s_or_b32 exec_lo, exec_lo, s37
	s_and_saveexec_b32 s3, s38
	s_delay_alu instid0(SALU_CYCLE_1)
	s_xor_b32 s3, exec_lo, s3
	s_cbranch_execz .LBB5_30
; %bb.29:                               ;   in Loop: Header=BB5_9 Depth=2
	v_lshlrev_b64 v[7:8], 2, v[11:12]
	s_delay_alu instid0(VALU_DEP_1) | instskip(NEXT) | instid1(VALU_DEP_2)
	v_add_co_u32 v7, vcc_lo, s14, v7
	v_add_co_ci_u32_e32 v8, vcc_lo, s15, v8, vcc_lo
	global_load_b32 v7, v[7:8], off
	s_waitcnt vmcnt(0)
	v_fmac_f32_e32 v26, v7, v4
.LBB5_30:                               ;   in Loop: Header=BB5_9 Depth=2
	s_or_b32 exec_lo, exec_lo, s3
.LBB5_31:                               ;   in Loop: Header=BB5_9 Depth=2
	s_delay_alu instid0(SALU_CYCLE_1) | instskip(SKIP_2) | instid1(VALU_DEP_1)
	s_or_b32 exec_lo, exec_lo, s4
	v_sub_f32_e32 v7, v24, v25
	s_waitcnt vmcnt(0)
	v_div_scale_f32 v8, null, v4, v4, v7
	s_delay_alu instid0(VALU_DEP_1) | instskip(SKIP_2) | instid1(VALU_DEP_1)
	v_rcp_f32_e32 v9, v8
	s_waitcnt_depctr 0xfff
	v_fma_f32 v10, -v8, v9, 1.0
	v_fmac_f32_e32 v9, v10, v9
	v_div_scale_f32 v10, vcc_lo, v7, v4, v7
	s_delay_alu instid0(VALU_DEP_1) | instskip(NEXT) | instid1(VALU_DEP_1)
	v_mul_f32_e32 v11, v10, v9
	v_fma_f32 v12, -v8, v11, v10
	s_delay_alu instid0(VALU_DEP_1) | instskip(NEXT) | instid1(VALU_DEP_1)
	v_fmac_f32_e32 v11, v12, v9
	v_fma_f32 v8, -v8, v11, v10
	s_delay_alu instid0(VALU_DEP_1) | instskip(SKIP_1) | instid1(VALU_DEP_2)
	v_div_fmas_f32 v8, v8, v9, v11
	v_cmp_gt_i32_e32 vcc_lo, v1, v3
	v_div_fixup_f32 v8, v8, v4, v7
	s_delay_alu instid0(VALU_DEP_1) | instskip(NEXT) | instid1(VALU_DEP_1)
	v_cndmask_b32_e32 v7, v7, v8, vcc_lo
	v_cmp_class_f32_e64 s4, v7, 0x1f8
	s_delay_alu instid0(VALU_DEP_1)
	s_and_saveexec_b32 s3, s4
	s_cbranch_execz .LBB5_8
; %bb.32:                               ;   in Loop: Header=BB5_9 Depth=2
	v_add_co_u32 v5, vcc_lo, s14, v5
	v_add_co_ci_u32_e32 v6, vcc_lo, s15, v6, vcc_lo
	global_store_b32 v[5:6], v7, off
	s_branch .LBB5_8
.LBB5_33:
	s_or_b32 exec_lo, exec_lo, s6
	v_mbcnt_lo_u32_b32 v1, -1, 0
	s_mov_b32 s2, exec_lo
	s_delay_alu instid0(VALU_DEP_1) | instskip(SKIP_2) | instid1(VALU_DEP_3)
	v_xor_b32_e32 v2, 4, v1
	v_xor_b32_e32 v3, 2, v1
	;; [unrolled: 1-line block ×3, first 2 shown]
	v_cmp_gt_i32_e32 vcc_lo, 32, v2
	v_cndmask_b32_e32 v2, v1, v2, vcc_lo
	s_delay_alu instid0(VALU_DEP_4) | instskip(SKIP_1) | instid1(VALU_DEP_1)
	v_cmp_gt_i32_e32 vcc_lo, 32, v3
	v_cndmask_b32_e32 v3, v1, v3, vcc_lo
	v_lshlrev_b32_e32 v3, 2, v3
	s_delay_alu instid0(VALU_DEP_4)
	v_lshlrev_b32_e32 v2, 2, v2
	ds_bpermute_b32 v2, v2, v18
	s_waitcnt lgkmcnt(0)
	v_cmp_lt_f32_e32 vcc_lo, v18, v2
	v_cndmask_b32_e32 v2, v18, v2, vcc_lo
	v_cmp_gt_i32_e32 vcc_lo, 32, v4
	ds_bpermute_b32 v3, v3, v2
	v_cndmask_b32_e32 v4, v1, v4, vcc_lo
	s_waitcnt lgkmcnt(0)
	v_cmp_lt_f32_e32 vcc_lo, v2, v3
	s_delay_alu instid0(VALU_DEP_2)
	v_dual_cndmask_b32 v1, v2, v3 :: v_dual_lshlrev_b32 v2, 2, v4
	ds_bpermute_b32 v2, v2, v1
	v_cmpx_eq_u32_e32 7, v16
	s_cbranch_execz .LBB5_35
; %bb.34:
	s_waitcnt lgkmcnt(0)
	v_cmp_lt_f32_e32 vcc_lo, v1, v2
	v_lshlrev_b32_e32 v3, 2, v15
	v_cndmask_b32_e32 v1, v1, v2, vcc_lo
	ds_store_b32 v3, v1
.LBB5_35:
	s_or_b32 exec_lo, exec_lo, s2
	v_lshlrev_b32_e32 v1, 2, v0
	s_mov_b32 s2, exec_lo
	s_waitcnt lgkmcnt(0)
	s_waitcnt_vscnt null, 0x0
	s_barrier
	buffer_gl0_inv
	v_cmpx_gt_u32_e32 64, v0
	s_cbranch_execz .LBB5_37
; %bb.36:
	ds_load_2addr_stride64_b32 v[2:3], v1 offset1:1
	s_waitcnt lgkmcnt(0)
	v_cmp_lt_f32_e32 vcc_lo, v2, v3
	v_cndmask_b32_e32 v2, v2, v3, vcc_lo
	ds_store_b32 v1, v2
.LBB5_37:
	s_or_b32 exec_lo, exec_lo, s2
	s_delay_alu instid0(SALU_CYCLE_1)
	s_mov_b32 s2, exec_lo
	s_waitcnt lgkmcnt(0)
	s_barrier
	buffer_gl0_inv
	v_cmpx_gt_u32_e32 32, v0
	s_cbranch_execz .LBB5_39
; %bb.38:
	ds_load_2addr_b32 v[2:3], v1 offset1:32
	s_waitcnt lgkmcnt(0)
	v_cmp_lt_f32_e32 vcc_lo, v2, v3
	v_cndmask_b32_e32 v2, v2, v3, vcc_lo
	ds_store_b32 v1, v2
.LBB5_39:
	s_or_b32 exec_lo, exec_lo, s2
	s_delay_alu instid0(SALU_CYCLE_1)
	s_mov_b32 s2, exec_lo
	s_waitcnt lgkmcnt(0)
	s_barrier
	buffer_gl0_inv
	v_cmpx_gt_u32_e32 16, v0
	s_cbranch_execz .LBB5_41
; %bb.40:
	ds_load_2addr_b32 v[2:3], v1 offset1:16
	s_waitcnt lgkmcnt(0)
	v_cmp_lt_f32_e32 vcc_lo, v2, v3
	v_cndmask_b32_e32 v2, v2, v3, vcc_lo
	ds_store_b32 v1, v2
.LBB5_41:
	s_or_b32 exec_lo, exec_lo, s2
	s_delay_alu instid0(SALU_CYCLE_1)
	s_mov_b32 s2, exec_lo
	s_waitcnt lgkmcnt(0)
	s_barrier
	buffer_gl0_inv
	v_cmpx_gt_u32_e32 8, v0
	s_cbranch_execz .LBB5_43
; %bb.42:
	ds_load_2addr_b32 v[2:3], v1 offset1:8
	s_waitcnt lgkmcnt(0)
	v_cmp_lt_f32_e32 vcc_lo, v2, v3
	v_cndmask_b32_e32 v2, v2, v3, vcc_lo
	ds_store_b32 v1, v2
.LBB5_43:
	s_or_b32 exec_lo, exec_lo, s2
	s_delay_alu instid0(SALU_CYCLE_1)
	s_mov_b32 s2, exec_lo
	s_waitcnt lgkmcnt(0)
	s_barrier
	buffer_gl0_inv
	v_cmpx_gt_u32_e32 4, v0
	s_cbranch_execz .LBB5_45
; %bb.44:
	ds_load_2addr_b32 v[2:3], v1 offset1:4
	s_waitcnt lgkmcnt(0)
	v_cmp_lt_f32_e32 vcc_lo, v2, v3
	v_cndmask_b32_e32 v2, v2, v3, vcc_lo
	ds_store_b32 v1, v2
.LBB5_45:
	s_or_b32 exec_lo, exec_lo, s2
	s_delay_alu instid0(SALU_CYCLE_1)
	s_mov_b32 s2, exec_lo
	s_waitcnt lgkmcnt(0)
	s_barrier
	buffer_gl0_inv
	v_cmpx_gt_u32_e32 2, v0
	s_cbranch_execz .LBB5_47
; %bb.46:
	ds_load_2addr_b32 v[2:3], v1 offset1:2
	s_waitcnt lgkmcnt(0)
	v_cmp_lt_f32_e32 vcc_lo, v2, v3
	v_cndmask_b32_e32 v2, v2, v3, vcc_lo
	ds_store_b32 v1, v2
.LBB5_47:
	s_or_b32 exec_lo, exec_lo, s2
	v_cmp_eq_u32_e32 vcc_lo, 0, v0
	s_waitcnt lgkmcnt(0)
	s_barrier
	buffer_gl0_inv
	s_and_saveexec_b32 s3, vcc_lo
	s_cbranch_execz .LBB5_49
; %bb.48:
	v_mov_b32_e32 v2, 0
	ds_load_b64 v[0:1], v2
	s_waitcnt lgkmcnt(0)
	v_cmp_lt_f32_e64 s2, v0, v1
	s_delay_alu instid0(VALU_DEP_1)
	v_cndmask_b32_e64 v0, v0, v1, s2
	ds_store_b32 v2, v0
.LBB5_49:
	s_or_b32 exec_lo, exec_lo, s3
	s_waitcnt lgkmcnt(0)
	s_barrier
	buffer_gl0_inv
	s_and_saveexec_b32 s2, vcc_lo
	s_cbranch_execz .LBB5_54
; %bb.50:
	s_load_b128 s[4:7], s[0:1], 0x70
	v_mov_b32_e32 v2, 0
	s_mov_b32 s1, 0
                                        ; implicit-def: $sgpr2
                                        ; implicit-def: $sgpr3
	ds_load_b32 v0, v2
	s_waitcnt lgkmcnt(0)
	s_load_b32 s0, s[6:7], 0x0
	s_waitcnt lgkmcnt(0)
	v_div_scale_f32 v3, null, s0, s0, v0
	v_div_scale_f32 v6, vcc_lo, v0, s0, v0
	s_delay_alu instid0(VALU_DEP_2) | instskip(SKIP_2) | instid1(VALU_DEP_1)
	v_rcp_f32_e32 v4, v3
	s_waitcnt_depctr 0xfff
	v_fma_f32 v5, -v3, v4, 1.0
	v_fmac_f32_e32 v4, v5, v4
	s_delay_alu instid0(VALU_DEP_1) | instskip(SKIP_2) | instid1(VALU_DEP_1)
	v_mul_f32_e32 v5, v6, v4
	global_load_b32 v1, v2, s[4:5] glc
	v_fma_f32 v7, -v3, v5, v6
	v_fmac_f32_e32 v5, v7, v4
	s_delay_alu instid0(VALU_DEP_1) | instskip(NEXT) | instid1(VALU_DEP_1)
	v_fma_f32 v3, -v3, v5, v6
	v_div_fmas_f32 v3, v3, v4, v5
	s_delay_alu instid0(VALU_DEP_1) | instskip(NEXT) | instid1(VALU_DEP_1)
	v_div_fixup_f32 v0, v3, s0, v0
	v_cmp_eq_f32_e32 vcc_lo, 0, v0
	s_waitcnt vmcnt(0)
	v_cmp_eq_u32_e64 s6, 0x80000000, v1
	s_set_inst_prefetch_distance 0x1
	s_branch .LBB5_52
	.p2align	6
.LBB5_51:                               ;   in Loop: Header=BB5_52 Depth=1
	s_or_b32 exec_lo, exec_lo, s7
	s_delay_alu instid0(SALU_CYCLE_1) | instskip(NEXT) | instid1(SALU_CYCLE_1)
	s_and_b32 s0, exec_lo, s2
	s_or_b32 s1, s0, s1
	s_and_not1_b32 s0, s6, exec_lo
	s_and_b32 s6, s3, exec_lo
	s_delay_alu instid0(SALU_CYCLE_1)
	s_or_b32 s6, s0, s6
	s_and_not1_b32 exec_lo, exec_lo, s1
	s_cbranch_execz .LBB5_54
.LBB5_52:                               ; =>This Inner Loop Header: Depth=1
	v_cmp_lt_f32_e64 s0, v1, v0
	s_delay_alu instid0(VALU_DEP_2) | instskip(SKIP_2) | instid1(VALU_DEP_1)
	s_and_b32 s7, vcc_lo, s6
	s_and_not1_b32 s3, s3, exec_lo
	s_or_b32 s2, s2, exec_lo
	s_or_b32 s0, s0, s7
	s_delay_alu instid0(SALU_CYCLE_1)
	s_and_saveexec_b32 s7, s0
	s_cbranch_execz .LBB5_51
; %bb.53:                               ;   in Loop: Header=BB5_52 Depth=1
	global_atomic_cmpswap_b32 v3, v2, v[0:1], s[4:5] glc
	s_and_not1_b32 s3, s3, exec_lo
	s_and_not1_b32 s2, s2, exec_lo
	s_waitcnt vmcnt(0)
	v_cmp_eq_u32_e64 s0, v3, v1
	s_delay_alu instid0(VALU_DEP_1) | instskip(SKIP_1) | instid1(SALU_CYCLE_1)
	v_cndmask_b32_e64 v1, v3, v1, s0
	s_and_b32 s0, s0, exec_lo
	s_or_b32 s2, s2, s0
	s_delay_alu instid0(VALU_DEP_1) | instskip(SKIP_1) | instid1(VALU_DEP_2)
	v_cmp_class_f32_e64 s6, v1, 32
	v_mov_b32_e32 v1, v3
	s_and_b32 s6, s6, exec_lo
	s_delay_alu instid0(SALU_CYCLE_1)
	s_or_b32 s3, s3, s6
                                        ; implicit-def: $sgpr6
	s_branch .LBB5_51
.LBB5_54:
	s_set_inst_prefetch_distance 0x2
	s_endpgm
	.section	.rodata,"a",@progbits
	.p2align	6, 0x0
	.amdhsa_kernel _ZN9rocsparseL16kernel_calculateILi1024ELi8ELb1EfiiEEvT4_T3_PKS2_S4_PKS1_PKT2_21rocsparse_index_base_S4_S4_S6_S4_S4_S6_S4_PS7_PNS_15floating_traitsIS7_E6data_tEPKSE_
		.amdhsa_group_segment_fixed_size 512
		.amdhsa_private_segment_fixed_size 0
		.amdhsa_kernarg_size 128
		.amdhsa_user_sgpr_count 15
		.amdhsa_user_sgpr_dispatch_ptr 0
		.amdhsa_user_sgpr_queue_ptr 0
		.amdhsa_user_sgpr_kernarg_segment_ptr 1
		.amdhsa_user_sgpr_dispatch_id 0
		.amdhsa_user_sgpr_private_segment_size 0
		.amdhsa_wavefront_size32 1
		.amdhsa_uses_dynamic_stack 0
		.amdhsa_enable_private_segment 0
		.amdhsa_system_sgpr_workgroup_id_x 1
		.amdhsa_system_sgpr_workgroup_id_y 0
		.amdhsa_system_sgpr_workgroup_id_z 0
		.amdhsa_system_sgpr_workgroup_info 0
		.amdhsa_system_vgpr_workitem_id 0
		.amdhsa_next_free_vgpr 32
		.amdhsa_next_free_sgpr 42
		.amdhsa_reserve_vcc 1
		.amdhsa_float_round_mode_32 0
		.amdhsa_float_round_mode_16_64 0
		.amdhsa_float_denorm_mode_32 3
		.amdhsa_float_denorm_mode_16_64 3
		.amdhsa_dx10_clamp 1
		.amdhsa_ieee_mode 1
		.amdhsa_fp16_overflow 0
		.amdhsa_workgroup_processor_mode 1
		.amdhsa_memory_ordered 1
		.amdhsa_forward_progress 0
		.amdhsa_shared_vgpr_count 0
		.amdhsa_exception_fp_ieee_invalid_op 0
		.amdhsa_exception_fp_denorm_src 0
		.amdhsa_exception_fp_ieee_div_zero 0
		.amdhsa_exception_fp_ieee_overflow 0
		.amdhsa_exception_fp_ieee_underflow 0
		.amdhsa_exception_fp_ieee_inexact 0
		.amdhsa_exception_int_div_zero 0
	.end_amdhsa_kernel
	.section	.text._ZN9rocsparseL16kernel_calculateILi1024ELi8ELb1EfiiEEvT4_T3_PKS2_S4_PKS1_PKT2_21rocsparse_index_base_S4_S4_S6_S4_S4_S6_S4_PS7_PNS_15floating_traitsIS7_E6data_tEPKSE_,"axG",@progbits,_ZN9rocsparseL16kernel_calculateILi1024ELi8ELb1EfiiEEvT4_T3_PKS2_S4_PKS1_PKT2_21rocsparse_index_base_S4_S4_S6_S4_S4_S6_S4_PS7_PNS_15floating_traitsIS7_E6data_tEPKSE_,comdat
.Lfunc_end5:
	.size	_ZN9rocsparseL16kernel_calculateILi1024ELi8ELb1EfiiEEvT4_T3_PKS2_S4_PKS1_PKT2_21rocsparse_index_base_S4_S4_S6_S4_S4_S6_S4_PS7_PNS_15floating_traitsIS7_E6data_tEPKSE_, .Lfunc_end5-_ZN9rocsparseL16kernel_calculateILi1024ELi8ELb1EfiiEEvT4_T3_PKS2_S4_PKS1_PKT2_21rocsparse_index_base_S4_S4_S6_S4_S4_S6_S4_PS7_PNS_15floating_traitsIS7_E6data_tEPKSE_
                                        ; -- End function
	.section	.AMDGPU.csdata,"",@progbits
; Kernel info:
; codeLenInByte = 2712
; NumSgprs: 44
; NumVgprs: 32
; ScratchSize: 0
; MemoryBound: 0
; FloatMode: 240
; IeeeMode: 1
; LDSByteSize: 512 bytes/workgroup (compile time only)
; SGPRBlocks: 5
; VGPRBlocks: 3
; NumSGPRsForWavesPerEU: 44
; NumVGPRsForWavesPerEU: 32
; Occupancy: 16
; WaveLimiterHint : 1
; COMPUTE_PGM_RSRC2:SCRATCH_EN: 0
; COMPUTE_PGM_RSRC2:USER_SGPR: 15
; COMPUTE_PGM_RSRC2:TRAP_HANDLER: 0
; COMPUTE_PGM_RSRC2:TGID_X_EN: 1
; COMPUTE_PGM_RSRC2:TGID_Y_EN: 0
; COMPUTE_PGM_RSRC2:TGID_Z_EN: 0
; COMPUTE_PGM_RSRC2:TIDIG_COMP_CNT: 0
	.section	.text._ZN9rocsparseL16kernel_calculateILi1024ELi16ELb1EfiiEEvT4_T3_PKS2_S4_PKS1_PKT2_21rocsparse_index_base_S4_S4_S6_S4_S4_S6_S4_PS7_PNS_15floating_traitsIS7_E6data_tEPKSE_,"axG",@progbits,_ZN9rocsparseL16kernel_calculateILi1024ELi16ELb1EfiiEEvT4_T3_PKS2_S4_PKS1_PKT2_21rocsparse_index_base_S4_S4_S6_S4_S4_S6_S4_PS7_PNS_15floating_traitsIS7_E6data_tEPKSE_,comdat
	.globl	_ZN9rocsparseL16kernel_calculateILi1024ELi16ELb1EfiiEEvT4_T3_PKS2_S4_PKS1_PKT2_21rocsparse_index_base_S4_S4_S6_S4_S4_S6_S4_PS7_PNS_15floating_traitsIS7_E6data_tEPKSE_ ; -- Begin function _ZN9rocsparseL16kernel_calculateILi1024ELi16ELb1EfiiEEvT4_T3_PKS2_S4_PKS1_PKT2_21rocsparse_index_base_S4_S4_S6_S4_S4_S6_S4_PS7_PNS_15floating_traitsIS7_E6data_tEPKSE_
	.p2align	8
	.type	_ZN9rocsparseL16kernel_calculateILi1024ELi16ELb1EfiiEEvT4_T3_PKS2_S4_PKS1_PKT2_21rocsparse_index_base_S4_S4_S6_S4_S4_S6_S4_PS7_PNS_15floating_traitsIS7_E6data_tEPKSE_,@function
_ZN9rocsparseL16kernel_calculateILi1024ELi16ELb1EfiiEEvT4_T3_PKS2_S4_PKS1_PKT2_21rocsparse_index_base_S4_S4_S6_S4_S4_S6_S4_PS7_PNS_15floating_traitsIS7_E6data_tEPKSE_: ; @_ZN9rocsparseL16kernel_calculateILi1024ELi16ELb1EfiiEEvT4_T3_PKS2_S4_PKS1_PKT2_21rocsparse_index_base_S4_S4_S6_S4_S4_S6_S4_PS7_PNS_15floating_traitsIS7_E6data_tEPKSE_
; %bb.0:
	s_load_b32 s5, s[0:1], 0x0
	v_lshrrev_b32_e32 v15, 4, v0
	v_and_b32_e32 v16, 15, v0
	v_mov_b32_e32 v18, 0
	s_mov_b32 s6, exec_lo
	s_delay_alu instid0(VALU_DEP_3) | instskip(SKIP_1) | instid1(VALU_DEP_1)
	v_lshl_or_b32 v17, s15, 10, v15
	s_waitcnt lgkmcnt(0)
	v_cmpx_gt_i32_e64 s5, v17
	s_cbranch_execz .LBB6_33
; %bb.1:
	s_clause 0x3
	s_load_b32 s7, s[0:1], 0x28
	s_load_b256 s[8:15], s[0:1], 0x50
	s_load_b256 s[16:23], s[0:1], 0x30
	;; [unrolled: 1-line block ×3, first 2 shown]
	v_mov_b32_e32 v18, 0
	s_mov_b32 s33, 0
	s_waitcnt lgkmcnt(0)
	v_subrev_nc_u32_e32 v19, s7, v16
	s_branch .LBB6_5
.LBB6_2:                                ;   in Loop: Header=BB6_5 Depth=1
	s_or_b32 exec_lo, exec_lo, s36
.LBB6_3:                                ;   in Loop: Header=BB6_5 Depth=1
	s_delay_alu instid0(SALU_CYCLE_1)
	s_or_b32 exec_lo, exec_lo, s35
.LBB6_4:                                ;   in Loop: Header=BB6_5 Depth=1
	s_delay_alu instid0(SALU_CYCLE_1) | instskip(SKIP_1) | instid1(SALU_CYCLE_1)
	s_or_b32 exec_lo, exec_lo, s34
	s_add_i32 s33, s33, 1
	s_cmp_lg_u32 s33, 16
	s_cbranch_scc0 .LBB6_33
.LBB6_5:                                ; =>This Loop Header: Depth=1
                                        ;     Child Loop BB6_9 Depth 2
                                        ;       Child Loop BB6_12 Depth 3
                                        ;       Child Loop BB6_18 Depth 3
	;; [unrolled: 1-line block ×3, first 2 shown]
	v_lshl_add_u32 v1, s33, 6, v17
	s_mov_b32 s34, exec_lo
	s_delay_alu instid0(VALU_DEP_1)
	v_cmpx_gt_i32_e64 s5, v1
	s_cbranch_execz .LBB6_4
; %bb.6:                                ;   in Loop: Header=BB6_5 Depth=1
	v_ashrrev_i32_e32 v2, 31, v1
	s_mov_b32 s35, exec_lo
	s_delay_alu instid0(VALU_DEP_1) | instskip(NEXT) | instid1(VALU_DEP_1)
	v_lshlrev_b64 v[3:4], 2, v[1:2]
	v_add_co_u32 v5, vcc_lo, s26, v3
	s_delay_alu instid0(VALU_DEP_2)
	v_add_co_ci_u32_e32 v6, vcc_lo, s27, v4, vcc_lo
	v_add_co_u32 v7, vcc_lo, s24, v3
	v_add_co_ci_u32_e32 v8, vcc_lo, s25, v4, vcc_lo
	global_load_b32 v2, v[5:6], off
	global_load_b32 v5, v[7:8], off
	s_waitcnt vmcnt(1)
	v_subrev_nc_u32_e32 v20, s7, v2
	s_waitcnt vmcnt(0)
	v_add_nc_u32_e32 v2, v19, v5
	s_delay_alu instid0(VALU_DEP_1)
	v_cmpx_lt_i32_e64 v2, v20
	s_cbranch_execz .LBB6_3
; %bb.7:                                ;   in Loop: Header=BB6_5 Depth=1
	v_add_co_u32 v5, vcc_lo, s18, v3
	v_add_co_ci_u32_e32 v6, vcc_lo, s19, v4, vcc_lo
	v_add_co_u32 v3, vcc_lo, s16, v3
	v_add_co_ci_u32_e32 v4, vcc_lo, s17, v4, vcc_lo
	s_mov_b32 s36, 0
	global_load_b32 v5, v[5:6], off
	global_load_b32 v3, v[3:4], off
	s_waitcnt vmcnt(1)
	v_subrev_nc_u32_e32 v21, s7, v5
	s_waitcnt vmcnt(0)
	v_subrev_nc_u32_e32 v22, s7, v3
	v_cmp_lt_i32_e64 s2, v3, v5
	s_branch .LBB6_9
.LBB6_8:                                ;   in Loop: Header=BB6_9 Depth=2
	s_or_b32 exec_lo, exec_lo, s3
	v_add_f32_e32 v4, v4, v26
	v_cmp_eq_u32_e32 vcc_lo, v1, v3
	s_delay_alu instid0(VALU_DEP_2) | instskip(NEXT) | instid1(VALU_DEP_1)
	v_dual_cndmask_b32 v3, v26, v4 :: v_dual_add_nc_u32 v2, 16, v2
	v_cmp_ge_i32_e64 s4, v2, v20
	s_delay_alu instid0(VALU_DEP_2) | instskip(NEXT) | instid1(VALU_DEP_1)
	v_and_b32_e32 v3, 0x7fffffff, v3
	v_cmp_nlg_f32_e32 vcc_lo, 0x7f800000, v3
	v_cmp_gt_f32_e64 s3, v18, v3
	s_delay_alu instid0(VALU_DEP_1)
	s_or_b32 vcc_lo, vcc_lo, s3
	s_or_b32 s36, s4, s36
	v_cndmask_b32_e32 v18, v3, v18, vcc_lo
	s_and_not1_b32 exec_lo, exec_lo, s36
	s_cbranch_execz .LBB6_2
.LBB6_9:                                ;   Parent Loop BB6_5 Depth=1
                                        ; =>  This Loop Header: Depth=2
                                        ;       Child Loop BB6_12 Depth 3
                                        ;       Child Loop BB6_18 Depth 3
	;; [unrolled: 1-line block ×3, first 2 shown]
	v_ashrrev_i32_e32 v3, 31, v2
	v_mov_b32_e32 v25, 0
	s_delay_alu instid0(VALU_DEP_2) | instskip(NEXT) | instid1(VALU_DEP_1)
	v_lshlrev_b64 v[5:6], 2, v[2:3]
	v_add_co_u32 v3, vcc_lo, s28, v5
	s_delay_alu instid0(VALU_DEP_2) | instskip(SKIP_3) | instid1(VALU_DEP_1)
	v_add_co_ci_u32_e32 v4, vcc_lo, s29, v6, vcc_lo
	global_load_b32 v23, v[3:4], off
	s_waitcnt vmcnt(0)
	v_subrev_nc_u32_e32 v3, s7, v23
	v_ashrrev_i32_e32 v4, 31, v3
	s_delay_alu instid0(VALU_DEP_1) | instskip(NEXT) | instid1(VALU_DEP_1)
	v_lshlrev_b64 v[7:8], 2, v[3:4]
	v_add_co_u32 v9, vcc_lo, s18, v7
	s_delay_alu instid0(VALU_DEP_2)
	v_add_co_ci_u32_e32 v10, vcc_lo, s19, v8, vcc_lo
	v_add_co_u32 v11, vcc_lo, s8, v7
	v_add_co_ci_u32_e32 v12, vcc_lo, s9, v8, vcc_lo
	global_load_b32 v4, v[9:10], off
	v_add_co_u32 v7, vcc_lo, s22, v7
	v_add_co_ci_u32_e32 v8, vcc_lo, s23, v8, vcc_lo
	v_add_co_u32 v13, vcc_lo, s30, v5
	v_add_co_ci_u32_e32 v14, vcc_lo, s31, v6, vcc_lo
	global_load_b32 v11, v[11:12], off
	global_load_b32 v12, v[7:8], off
	s_waitcnt vmcnt(2)
	v_subrev_nc_u32_e32 v9, s7, v4
	s_delay_alu instid0(VALU_DEP_1) | instskip(SKIP_2) | instid1(VALU_DEP_2)
	v_ashrrev_i32_e32 v10, 31, v9
	s_waitcnt vmcnt(1)
	v_subrev_nc_u32_e32 v27, s7, v11
	v_lshlrev_b64 v[9:10], 2, v[9:10]
	s_delay_alu instid0(VALU_DEP_1) | instskip(NEXT) | instid1(VALU_DEP_2)
	v_add_co_u32 v7, vcc_lo, s14, v9
	v_add_co_ci_u32_e32 v8, vcc_lo, s15, v10, vcc_lo
	s_waitcnt vmcnt(0)
	v_cmp_lt_i32_e32 vcc_lo, v12, v11
	global_load_b32 v24, v[13:14], off
	global_load_b32 v4, v[7:8], off
	v_subrev_nc_u32_e32 v9, s7, v12
	v_mov_b32_e32 v7, v22
	s_and_b32 s3, s2, vcc_lo
	s_delay_alu instid0(SALU_CYCLE_1)
	s_and_saveexec_b32 s4, s3
	s_cbranch_execz .LBB6_15
; %bb.10:                               ;   in Loop: Header=BB6_9 Depth=2
	v_mov_b32_e32 v25, 0
	v_mov_b32_e32 v7, v22
	s_mov_b32 s37, 0
	s_branch .LBB6_12
.LBB6_11:                               ;   in Loop: Header=BB6_12 Depth=3
	s_or_b32 exec_lo, exec_lo, s3
	v_cmp_le_i32_e32 vcc_lo, v8, v10
	v_add_co_ci_u32_e32 v7, vcc_lo, 0, v7, vcc_lo
	v_cmp_ge_i32_e32 vcc_lo, v8, v10
	v_add_co_ci_u32_e32 v9, vcc_lo, 0, v9, vcc_lo
	s_delay_alu instid0(VALU_DEP_3) | instskip(NEXT) | instid1(VALU_DEP_2)
	v_cmp_ge_i32_e32 vcc_lo, v7, v21
	v_cmp_ge_i32_e64 s3, v9, v27
	s_delay_alu instid0(VALU_DEP_1) | instskip(NEXT) | instid1(SALU_CYCLE_1)
	s_or_b32 s3, vcc_lo, s3
	s_and_b32 s3, exec_lo, s3
	s_delay_alu instid0(SALU_CYCLE_1) | instskip(NEXT) | instid1(SALU_CYCLE_1)
	s_or_b32 s37, s3, s37
	s_and_not1_b32 exec_lo, exec_lo, s37
	s_cbranch_execz .LBB6_14
.LBB6_12:                               ;   Parent Loop BB6_5 Depth=1
                                        ;     Parent Loop BB6_9 Depth=2
                                        ; =>    This Inner Loop Header: Depth=3
	s_delay_alu instid0(VALU_DEP_1) | instskip(SKIP_2) | instid1(VALU_DEP_2)
	v_ashrrev_i32_e32 v8, 31, v7
	v_ashrrev_i32_e32 v10, 31, v9
	s_mov_b32 s3, exec_lo
	v_lshlrev_b64 v[11:12], 2, v[7:8]
	s_delay_alu instid0(VALU_DEP_2) | instskip(NEXT) | instid1(VALU_DEP_2)
	v_lshlrev_b64 v[13:14], 2, v[9:10]
	v_add_co_u32 v28, vcc_lo, s20, v11
	s_delay_alu instid0(VALU_DEP_3) | instskip(NEXT) | instid1(VALU_DEP_3)
	v_add_co_ci_u32_e32 v29, vcc_lo, s21, v12, vcc_lo
	v_add_co_u32 v30, vcc_lo, s10, v13
	s_delay_alu instid0(VALU_DEP_4)
	v_add_co_ci_u32_e32 v31, vcc_lo, s11, v14, vcc_lo
	global_load_b32 v8, v[28:29], off
	global_load_b32 v10, v[30:31], off
	s_waitcnt vmcnt(0)
	v_cmpx_eq_u32_e64 v8, v10
	s_cbranch_execz .LBB6_11
; %bb.13:                               ;   in Loop: Header=BB6_12 Depth=3
	v_add_co_u32 v13, vcc_lo, s12, v13
	v_add_co_ci_u32_e32 v14, vcc_lo, s13, v14, vcc_lo
	v_add_co_u32 v11, vcc_lo, s14, v11
	v_add_co_ci_u32_e32 v12, vcc_lo, s15, v12, vcc_lo
	global_load_b32 v13, v[13:14], off
	s_waitcnt vmcnt(0)
	v_ashrrev_i32_e32 v14, 31, v13
	s_delay_alu instid0(VALU_DEP_1) | instskip(NEXT) | instid1(VALU_DEP_1)
	v_lshlrev_b64 v[13:14], 2, v[13:14]
	v_add_co_u32 v13, vcc_lo, s14, v13
	s_delay_alu instid0(VALU_DEP_2)
	v_add_co_ci_u32_e32 v14, vcc_lo, s15, v14, vcc_lo
	s_clause 0x1
	global_load_b32 v11, v[11:12], off
	global_load_b32 v12, v[13:14], off
	s_waitcnt vmcnt(0)
	v_fmac_f32_e32 v25, v11, v12
	s_branch .LBB6_11
.LBB6_14:                               ;   in Loop: Header=BB6_9 Depth=2
	s_or_b32 exec_lo, exec_lo, s37
.LBB6_15:                               ;   in Loop: Header=BB6_9 Depth=2
	s_delay_alu instid0(SALU_CYCLE_1)
	s_or_b32 exec_lo, exec_lo, s4
	s_waitcnt vmcnt(1)
	v_sub_f32_e32 v26, v25, v24
	s_mov_b32 s4, exec_lo
	v_cmpx_lt_i32_e64 v9, v27
	s_cbranch_execz .LBB6_23
; %bb.16:                               ;   in Loop: Header=BB6_9 Depth=2
	v_ashrrev_i32_e32 v10, 31, v9
	s_mov_b32 s37, 0
                                        ; implicit-def: $sgpr38
                                        ; implicit-def: $sgpr40
                                        ; implicit-def: $sgpr39
	s_delay_alu instid0(VALU_DEP_1) | instskip(NEXT) | instid1(VALU_DEP_1)
	v_lshlrev_b64 v[11:12], 2, v[9:10]
	v_add_co_u32 v11, vcc_lo, s10, v11
	s_delay_alu instid0(VALU_DEP_2)
	v_add_co_ci_u32_e32 v12, vcc_lo, s11, v12, vcc_lo
	s_set_inst_prefetch_distance 0x1
	s_branch .LBB6_18
	.p2align	6
.LBB6_17:                               ;   in Loop: Header=BB6_18 Depth=3
	s_or_b32 exec_lo, exec_lo, s41
	s_delay_alu instid0(SALU_CYCLE_1) | instskip(NEXT) | instid1(SALU_CYCLE_1)
	s_and_b32 s3, exec_lo, s40
	s_or_b32 s37, s3, s37
	s_and_not1_b32 s3, s38, exec_lo
	s_and_b32 s38, s39, exec_lo
	s_delay_alu instid0(SALU_CYCLE_1)
	s_or_b32 s38, s3, s38
	s_and_not1_b32 exec_lo, exec_lo, s37
	s_cbranch_execz .LBB6_20
.LBB6_18:                               ;   Parent Loop BB6_5 Depth=1
                                        ;     Parent Loop BB6_9 Depth=2
                                        ; =>    This Inner Loop Header: Depth=3
	global_load_b32 v8, v[11:12], off
	v_dual_mov_b32 v14, v10 :: v_dual_mov_b32 v13, v9
	s_or_b32 s39, s39, exec_lo
	s_or_b32 s40, s40, exec_lo
	s_mov_b32 s41, exec_lo
                                        ; implicit-def: $vgpr9_vgpr10
	s_waitcnt vmcnt(0)
	v_subrev_nc_u32_e32 v8, s7, v8
	s_delay_alu instid0(VALU_DEP_1)
	v_cmpx_ne_u32_e64 v8, v1
	s_cbranch_execz .LBB6_17
; %bb.19:                               ;   in Loop: Header=BB6_18 Depth=3
	v_add_co_u32 v9, vcc_lo, v13, 1
	v_add_co_ci_u32_e32 v10, vcc_lo, 0, v14, vcc_lo
	v_add_co_u32 v11, s3, v11, 4
	s_delay_alu instid0(VALU_DEP_3) | instskip(SKIP_4) | instid1(SALU_CYCLE_1)
	v_cmp_ge_i32_e32 vcc_lo, v9, v27
	v_add_co_ci_u32_e64 v12, s3, 0, v12, s3
	s_and_not1_b32 s3, s40, exec_lo
	s_and_not1_b32 s39, s39, exec_lo
	s_and_b32 s40, vcc_lo, exec_lo
	s_or_b32 s40, s3, s40
	s_branch .LBB6_17
.LBB6_20:                               ;   in Loop: Header=BB6_9 Depth=2
	s_set_inst_prefetch_distance 0x2
	s_or_b32 exec_lo, exec_lo, s37
	s_and_saveexec_b32 s3, s38
	s_delay_alu instid0(SALU_CYCLE_1)
	s_xor_b32 s3, exec_lo, s3
	s_cbranch_execz .LBB6_22
; %bb.21:                               ;   in Loop: Header=BB6_9 Depth=2
	v_lshlrev_b64 v[8:9], 2, v[13:14]
	s_delay_alu instid0(VALU_DEP_1) | instskip(NEXT) | instid1(VALU_DEP_2)
	v_add_co_u32 v8, vcc_lo, s12, v8
	v_add_co_ci_u32_e32 v9, vcc_lo, s13, v9, vcc_lo
	global_load_b32 v8, v[8:9], off
	s_waitcnt vmcnt(0)
	v_ashrrev_i32_e32 v9, 31, v8
	s_delay_alu instid0(VALU_DEP_1) | instskip(NEXT) | instid1(VALU_DEP_1)
	v_lshlrev_b64 v[8:9], 2, v[8:9]
	v_add_co_u32 v8, vcc_lo, s14, v8
	s_delay_alu instid0(VALU_DEP_2)
	v_add_co_ci_u32_e32 v9, vcc_lo, s15, v9, vcc_lo
	global_load_b32 v8, v[8:9], off
	s_waitcnt vmcnt(0)
	v_add_f32_e32 v26, v26, v8
.LBB6_22:                               ;   in Loop: Header=BB6_9 Depth=2
	s_or_b32 exec_lo, exec_lo, s3
.LBB6_23:                               ;   in Loop: Header=BB6_9 Depth=2
	s_delay_alu instid0(SALU_CYCLE_1) | instskip(NEXT) | instid1(SALU_CYCLE_1)
	s_or_b32 exec_lo, exec_lo, s4
	s_mov_b32 s4, exec_lo
	v_cmpx_lt_i32_e64 v7, v21
	s_cbranch_execz .LBB6_31
; %bb.24:                               ;   in Loop: Header=BB6_9 Depth=2
	v_ashrrev_i32_e32 v8, 31, v7
	s_mov_b32 s37, 0
                                        ; implicit-def: $sgpr38
                                        ; implicit-def: $sgpr40
                                        ; implicit-def: $sgpr39
	s_delay_alu instid0(VALU_DEP_1) | instskip(NEXT) | instid1(VALU_DEP_1)
	v_lshlrev_b64 v[9:10], 2, v[7:8]
	v_add_co_u32 v9, vcc_lo, s20, v9
	s_delay_alu instid0(VALU_DEP_2)
	v_add_co_ci_u32_e32 v10, vcc_lo, s21, v10, vcc_lo
	s_set_inst_prefetch_distance 0x1
	s_branch .LBB6_26
	.p2align	6
.LBB6_25:                               ;   in Loop: Header=BB6_26 Depth=3
	s_or_b32 exec_lo, exec_lo, s41
	s_delay_alu instid0(SALU_CYCLE_1) | instskip(NEXT) | instid1(SALU_CYCLE_1)
	s_and_b32 s3, exec_lo, s40
	s_or_b32 s37, s3, s37
	s_and_not1_b32 s3, s38, exec_lo
	s_and_b32 s38, s39, exec_lo
	s_delay_alu instid0(SALU_CYCLE_1)
	s_or_b32 s38, s3, s38
	s_and_not1_b32 exec_lo, exec_lo, s37
	s_cbranch_execz .LBB6_28
.LBB6_26:                               ;   Parent Loop BB6_5 Depth=1
                                        ;     Parent Loop BB6_9 Depth=2
                                        ; =>    This Inner Loop Header: Depth=3
	global_load_b32 v13, v[9:10], off
	v_dual_mov_b32 v12, v8 :: v_dual_mov_b32 v11, v7
	s_or_b32 s39, s39, exec_lo
	s_or_b32 s40, s40, exec_lo
	s_mov_b32 s41, exec_lo
                                        ; implicit-def: $vgpr7_vgpr8
	s_waitcnt vmcnt(0)
	v_cmpx_ne_u32_e64 v13, v23
	s_cbranch_execz .LBB6_25
; %bb.27:                               ;   in Loop: Header=BB6_26 Depth=3
	v_add_co_u32 v7, vcc_lo, v11, 1
	v_add_co_ci_u32_e32 v8, vcc_lo, 0, v12, vcc_lo
	v_add_co_u32 v9, s3, v9, 4
	s_delay_alu instid0(VALU_DEP_3) | instskip(SKIP_4) | instid1(SALU_CYCLE_1)
	v_cmp_ge_i32_e32 vcc_lo, v7, v21
	v_add_co_ci_u32_e64 v10, s3, 0, v10, s3
	s_and_not1_b32 s3, s40, exec_lo
	s_and_not1_b32 s39, s39, exec_lo
	s_and_b32 s40, vcc_lo, exec_lo
	s_or_b32 s40, s3, s40
	s_branch .LBB6_25
.LBB6_28:                               ;   in Loop: Header=BB6_9 Depth=2
	s_set_inst_prefetch_distance 0x2
	s_or_b32 exec_lo, exec_lo, s37
	s_and_saveexec_b32 s3, s38
	s_delay_alu instid0(SALU_CYCLE_1)
	s_xor_b32 s3, exec_lo, s3
	s_cbranch_execz .LBB6_30
; %bb.29:                               ;   in Loop: Header=BB6_9 Depth=2
	v_lshlrev_b64 v[7:8], 2, v[11:12]
	s_delay_alu instid0(VALU_DEP_1) | instskip(NEXT) | instid1(VALU_DEP_2)
	v_add_co_u32 v7, vcc_lo, s14, v7
	v_add_co_ci_u32_e32 v8, vcc_lo, s15, v8, vcc_lo
	global_load_b32 v7, v[7:8], off
	s_waitcnt vmcnt(0)
	v_fmac_f32_e32 v26, v7, v4
.LBB6_30:                               ;   in Loop: Header=BB6_9 Depth=2
	s_or_b32 exec_lo, exec_lo, s3
.LBB6_31:                               ;   in Loop: Header=BB6_9 Depth=2
	s_delay_alu instid0(SALU_CYCLE_1) | instskip(SKIP_2) | instid1(VALU_DEP_1)
	s_or_b32 exec_lo, exec_lo, s4
	v_sub_f32_e32 v7, v24, v25
	s_waitcnt vmcnt(0)
	v_div_scale_f32 v8, null, v4, v4, v7
	s_delay_alu instid0(VALU_DEP_1) | instskip(SKIP_2) | instid1(VALU_DEP_1)
	v_rcp_f32_e32 v9, v8
	s_waitcnt_depctr 0xfff
	v_fma_f32 v10, -v8, v9, 1.0
	v_fmac_f32_e32 v9, v10, v9
	v_div_scale_f32 v10, vcc_lo, v7, v4, v7
	s_delay_alu instid0(VALU_DEP_1) | instskip(NEXT) | instid1(VALU_DEP_1)
	v_mul_f32_e32 v11, v10, v9
	v_fma_f32 v12, -v8, v11, v10
	s_delay_alu instid0(VALU_DEP_1) | instskip(NEXT) | instid1(VALU_DEP_1)
	v_fmac_f32_e32 v11, v12, v9
	v_fma_f32 v8, -v8, v11, v10
	s_delay_alu instid0(VALU_DEP_1) | instskip(SKIP_1) | instid1(VALU_DEP_2)
	v_div_fmas_f32 v8, v8, v9, v11
	v_cmp_gt_i32_e32 vcc_lo, v1, v3
	v_div_fixup_f32 v8, v8, v4, v7
	s_delay_alu instid0(VALU_DEP_1) | instskip(NEXT) | instid1(VALU_DEP_1)
	v_cndmask_b32_e32 v7, v7, v8, vcc_lo
	v_cmp_class_f32_e64 s4, v7, 0x1f8
	s_delay_alu instid0(VALU_DEP_1)
	s_and_saveexec_b32 s3, s4
	s_cbranch_execz .LBB6_8
; %bb.32:                               ;   in Loop: Header=BB6_9 Depth=2
	v_add_co_u32 v5, vcc_lo, s14, v5
	v_add_co_ci_u32_e32 v6, vcc_lo, s15, v6, vcc_lo
	global_store_b32 v[5:6], v7, off
	s_branch .LBB6_8
.LBB6_33:
	s_or_b32 exec_lo, exec_lo, s6
	v_mbcnt_lo_u32_b32 v1, -1, 0
	s_mov_b32 s2, exec_lo
	s_delay_alu instid0(VALU_DEP_1) | instskip(SKIP_2) | instid1(VALU_DEP_3)
	v_xor_b32_e32 v2, 8, v1
	v_xor_b32_e32 v3, 4, v1
	;; [unrolled: 1-line block ×3, first 2 shown]
	v_cmp_gt_i32_e32 vcc_lo, 32, v2
	v_cndmask_b32_e32 v2, v1, v2, vcc_lo
	s_delay_alu instid0(VALU_DEP_4) | instskip(SKIP_1) | instid1(VALU_DEP_1)
	v_cmp_gt_i32_e32 vcc_lo, 32, v3
	v_cndmask_b32_e32 v3, v1, v3, vcc_lo
	v_lshlrev_b32_e32 v3, 2, v3
	s_delay_alu instid0(VALU_DEP_4)
	v_lshlrev_b32_e32 v2, 2, v2
	ds_bpermute_b32 v2, v2, v18
	s_waitcnt lgkmcnt(0)
	v_cmp_lt_f32_e32 vcc_lo, v18, v2
	v_cndmask_b32_e32 v2, v18, v2, vcc_lo
	v_cmp_gt_i32_e32 vcc_lo, 32, v4
	ds_bpermute_b32 v3, v3, v2
	v_cndmask_b32_e32 v4, v1, v4, vcc_lo
	s_delay_alu instid0(VALU_DEP_1)
	v_lshlrev_b32_e32 v4, 2, v4
	s_waitcnt lgkmcnt(0)
	v_cmp_lt_f32_e32 vcc_lo, v2, v3
	v_cndmask_b32_e32 v2, v2, v3, vcc_lo
	ds_bpermute_b32 v3, v4, v2
	v_xor_b32_e32 v4, 1, v1
	s_delay_alu instid0(VALU_DEP_1) | instskip(SKIP_3) | instid1(VALU_DEP_2)
	v_cmp_gt_i32_e32 vcc_lo, 32, v4
	v_cndmask_b32_e32 v4, v1, v4, vcc_lo
	s_waitcnt lgkmcnt(0)
	v_cmp_lt_f32_e32 vcc_lo, v2, v3
	v_dual_cndmask_b32 v1, v2, v3 :: v_dual_lshlrev_b32 v2, 2, v4
	ds_bpermute_b32 v2, v2, v1
	v_cmpx_eq_u32_e32 15, v16
	s_cbranch_execz .LBB6_35
; %bb.34:
	s_waitcnt lgkmcnt(0)
	v_cmp_lt_f32_e32 vcc_lo, v1, v2
	v_lshlrev_b32_e32 v3, 2, v15
	v_cndmask_b32_e32 v1, v1, v2, vcc_lo
	ds_store_b32 v3, v1
.LBB6_35:
	s_or_b32 exec_lo, exec_lo, s2
	v_lshlrev_b32_e32 v1, 2, v0
	s_mov_b32 s2, exec_lo
	s_waitcnt lgkmcnt(0)
	s_waitcnt_vscnt null, 0x0
	s_barrier
	buffer_gl0_inv
	v_cmpx_gt_u32_e32 32, v0
	s_cbranch_execz .LBB6_37
; %bb.36:
	ds_load_2addr_b32 v[2:3], v1 offset1:32
	s_waitcnt lgkmcnt(0)
	v_cmp_lt_f32_e32 vcc_lo, v2, v3
	v_cndmask_b32_e32 v2, v2, v3, vcc_lo
	ds_store_b32 v1, v2
.LBB6_37:
	s_or_b32 exec_lo, exec_lo, s2
	s_delay_alu instid0(SALU_CYCLE_1)
	s_mov_b32 s2, exec_lo
	s_waitcnt lgkmcnt(0)
	s_barrier
	buffer_gl0_inv
	v_cmpx_gt_u32_e32 16, v0
	s_cbranch_execz .LBB6_39
; %bb.38:
	ds_load_2addr_b32 v[2:3], v1 offset1:16
	s_waitcnt lgkmcnt(0)
	v_cmp_lt_f32_e32 vcc_lo, v2, v3
	v_cndmask_b32_e32 v2, v2, v3, vcc_lo
	ds_store_b32 v1, v2
.LBB6_39:
	s_or_b32 exec_lo, exec_lo, s2
	s_delay_alu instid0(SALU_CYCLE_1)
	s_mov_b32 s2, exec_lo
	s_waitcnt lgkmcnt(0)
	;; [unrolled: 15-line block ×4, first 2 shown]
	s_barrier
	buffer_gl0_inv
	v_cmpx_gt_u32_e32 2, v0
	s_cbranch_execz .LBB6_45
; %bb.44:
	ds_load_2addr_b32 v[2:3], v1 offset1:2
	s_waitcnt lgkmcnt(0)
	v_cmp_lt_f32_e32 vcc_lo, v2, v3
	v_cndmask_b32_e32 v2, v2, v3, vcc_lo
	ds_store_b32 v1, v2
.LBB6_45:
	s_or_b32 exec_lo, exec_lo, s2
	v_cmp_eq_u32_e32 vcc_lo, 0, v0
	s_waitcnt lgkmcnt(0)
	s_barrier
	buffer_gl0_inv
	s_and_saveexec_b32 s3, vcc_lo
	s_cbranch_execz .LBB6_47
; %bb.46:
	v_mov_b32_e32 v2, 0
	ds_load_b64 v[0:1], v2
	s_waitcnt lgkmcnt(0)
	v_cmp_lt_f32_e64 s2, v0, v1
	s_delay_alu instid0(VALU_DEP_1)
	v_cndmask_b32_e64 v0, v0, v1, s2
	ds_store_b32 v2, v0
.LBB6_47:
	s_or_b32 exec_lo, exec_lo, s3
	s_waitcnt lgkmcnt(0)
	s_barrier
	buffer_gl0_inv
	s_and_saveexec_b32 s2, vcc_lo
	s_cbranch_execz .LBB6_52
; %bb.48:
	s_load_b128 s[4:7], s[0:1], 0x70
	v_mov_b32_e32 v2, 0
	s_mov_b32 s1, 0
                                        ; implicit-def: $sgpr2
                                        ; implicit-def: $sgpr3
	ds_load_b32 v0, v2
	s_waitcnt lgkmcnt(0)
	s_load_b32 s0, s[6:7], 0x0
	s_waitcnt lgkmcnt(0)
	v_div_scale_f32 v3, null, s0, s0, v0
	v_div_scale_f32 v6, vcc_lo, v0, s0, v0
	s_delay_alu instid0(VALU_DEP_2) | instskip(SKIP_2) | instid1(VALU_DEP_1)
	v_rcp_f32_e32 v4, v3
	s_waitcnt_depctr 0xfff
	v_fma_f32 v5, -v3, v4, 1.0
	v_fmac_f32_e32 v4, v5, v4
	s_delay_alu instid0(VALU_DEP_1) | instskip(SKIP_2) | instid1(VALU_DEP_1)
	v_mul_f32_e32 v5, v6, v4
	global_load_b32 v1, v2, s[4:5] glc
	v_fma_f32 v7, -v3, v5, v6
	v_fmac_f32_e32 v5, v7, v4
	s_delay_alu instid0(VALU_DEP_1) | instskip(NEXT) | instid1(VALU_DEP_1)
	v_fma_f32 v3, -v3, v5, v6
	v_div_fmas_f32 v3, v3, v4, v5
	s_delay_alu instid0(VALU_DEP_1) | instskip(NEXT) | instid1(VALU_DEP_1)
	v_div_fixup_f32 v0, v3, s0, v0
	v_cmp_eq_f32_e32 vcc_lo, 0, v0
	s_waitcnt vmcnt(0)
	v_cmp_eq_u32_e64 s6, 0x80000000, v1
	s_set_inst_prefetch_distance 0x1
	s_branch .LBB6_50
	.p2align	6
.LBB6_49:                               ;   in Loop: Header=BB6_50 Depth=1
	s_or_b32 exec_lo, exec_lo, s7
	s_delay_alu instid0(SALU_CYCLE_1) | instskip(NEXT) | instid1(SALU_CYCLE_1)
	s_and_b32 s0, exec_lo, s2
	s_or_b32 s1, s0, s1
	s_and_not1_b32 s0, s6, exec_lo
	s_and_b32 s6, s3, exec_lo
	s_delay_alu instid0(SALU_CYCLE_1)
	s_or_b32 s6, s0, s6
	s_and_not1_b32 exec_lo, exec_lo, s1
	s_cbranch_execz .LBB6_52
.LBB6_50:                               ; =>This Inner Loop Header: Depth=1
	v_cmp_lt_f32_e64 s0, v1, v0
	s_delay_alu instid0(VALU_DEP_2) | instskip(SKIP_2) | instid1(VALU_DEP_1)
	s_and_b32 s7, vcc_lo, s6
	s_and_not1_b32 s3, s3, exec_lo
	s_or_b32 s2, s2, exec_lo
	s_or_b32 s0, s0, s7
	s_delay_alu instid0(SALU_CYCLE_1)
	s_and_saveexec_b32 s7, s0
	s_cbranch_execz .LBB6_49
; %bb.51:                               ;   in Loop: Header=BB6_50 Depth=1
	global_atomic_cmpswap_b32 v3, v2, v[0:1], s[4:5] glc
	s_and_not1_b32 s3, s3, exec_lo
	s_and_not1_b32 s2, s2, exec_lo
	s_waitcnt vmcnt(0)
	v_cmp_eq_u32_e64 s0, v3, v1
	s_delay_alu instid0(VALU_DEP_1) | instskip(SKIP_1) | instid1(SALU_CYCLE_1)
	v_cndmask_b32_e64 v1, v3, v1, s0
	s_and_b32 s0, s0, exec_lo
	s_or_b32 s2, s2, s0
	s_delay_alu instid0(VALU_DEP_1) | instskip(SKIP_1) | instid1(VALU_DEP_2)
	v_cmp_class_f32_e64 s6, v1, 32
	v_mov_b32_e32 v1, v3
	s_and_b32 s6, s6, exec_lo
	s_delay_alu instid0(SALU_CYCLE_1)
	s_or_b32 s3, s3, s6
                                        ; implicit-def: $sgpr6
	s_branch .LBB6_49
.LBB6_52:
	s_set_inst_prefetch_distance 0x2
	s_endpgm
	.section	.rodata,"a",@progbits
	.p2align	6, 0x0
	.amdhsa_kernel _ZN9rocsparseL16kernel_calculateILi1024ELi16ELb1EfiiEEvT4_T3_PKS2_S4_PKS1_PKT2_21rocsparse_index_base_S4_S4_S6_S4_S4_S6_S4_PS7_PNS_15floating_traitsIS7_E6data_tEPKSE_
		.amdhsa_group_segment_fixed_size 256
		.amdhsa_private_segment_fixed_size 0
		.amdhsa_kernarg_size 128
		.amdhsa_user_sgpr_count 15
		.amdhsa_user_sgpr_dispatch_ptr 0
		.amdhsa_user_sgpr_queue_ptr 0
		.amdhsa_user_sgpr_kernarg_segment_ptr 1
		.amdhsa_user_sgpr_dispatch_id 0
		.amdhsa_user_sgpr_private_segment_size 0
		.amdhsa_wavefront_size32 1
		.amdhsa_uses_dynamic_stack 0
		.amdhsa_enable_private_segment 0
		.amdhsa_system_sgpr_workgroup_id_x 1
		.amdhsa_system_sgpr_workgroup_id_y 0
		.amdhsa_system_sgpr_workgroup_id_z 0
		.amdhsa_system_sgpr_workgroup_info 0
		.amdhsa_system_vgpr_workitem_id 0
		.amdhsa_next_free_vgpr 32
		.amdhsa_next_free_sgpr 42
		.amdhsa_reserve_vcc 1
		.amdhsa_float_round_mode_32 0
		.amdhsa_float_round_mode_16_64 0
		.amdhsa_float_denorm_mode_32 3
		.amdhsa_float_denorm_mode_16_64 3
		.amdhsa_dx10_clamp 1
		.amdhsa_ieee_mode 1
		.amdhsa_fp16_overflow 0
		.amdhsa_workgroup_processor_mode 1
		.amdhsa_memory_ordered 1
		.amdhsa_forward_progress 0
		.amdhsa_shared_vgpr_count 0
		.amdhsa_exception_fp_ieee_invalid_op 0
		.amdhsa_exception_fp_denorm_src 0
		.amdhsa_exception_fp_ieee_div_zero 0
		.amdhsa_exception_fp_ieee_overflow 0
		.amdhsa_exception_fp_ieee_underflow 0
		.amdhsa_exception_fp_ieee_inexact 0
		.amdhsa_exception_int_div_zero 0
	.end_amdhsa_kernel
	.section	.text._ZN9rocsparseL16kernel_calculateILi1024ELi16ELb1EfiiEEvT4_T3_PKS2_S4_PKS1_PKT2_21rocsparse_index_base_S4_S4_S6_S4_S4_S6_S4_PS7_PNS_15floating_traitsIS7_E6data_tEPKSE_,"axG",@progbits,_ZN9rocsparseL16kernel_calculateILi1024ELi16ELb1EfiiEEvT4_T3_PKS2_S4_PKS1_PKT2_21rocsparse_index_base_S4_S4_S6_S4_S4_S6_S4_PS7_PNS_15floating_traitsIS7_E6data_tEPKSE_,comdat
.Lfunc_end6:
	.size	_ZN9rocsparseL16kernel_calculateILi1024ELi16ELb1EfiiEEvT4_T3_PKS2_S4_PKS1_PKT2_21rocsparse_index_base_S4_S4_S6_S4_S4_S6_S4_PS7_PNS_15floating_traitsIS7_E6data_tEPKSE_, .Lfunc_end6-_ZN9rocsparseL16kernel_calculateILi1024ELi16ELb1EfiiEEvT4_T3_PKS2_S4_PKS1_PKT2_21rocsparse_index_base_S4_S4_S6_S4_S4_S6_S4_PS7_PNS_15floating_traitsIS7_E6data_tEPKSE_
                                        ; -- End function
	.section	.AMDGPU.csdata,"",@progbits
; Kernel info:
; codeLenInByte = 2688
; NumSgprs: 44
; NumVgprs: 32
; ScratchSize: 0
; MemoryBound: 0
; FloatMode: 240
; IeeeMode: 1
; LDSByteSize: 256 bytes/workgroup (compile time only)
; SGPRBlocks: 5
; VGPRBlocks: 3
; NumSGPRsForWavesPerEU: 44
; NumVGPRsForWavesPerEU: 32
; Occupancy: 16
; WaveLimiterHint : 1
; COMPUTE_PGM_RSRC2:SCRATCH_EN: 0
; COMPUTE_PGM_RSRC2:USER_SGPR: 15
; COMPUTE_PGM_RSRC2:TRAP_HANDLER: 0
; COMPUTE_PGM_RSRC2:TGID_X_EN: 1
; COMPUTE_PGM_RSRC2:TGID_Y_EN: 0
; COMPUTE_PGM_RSRC2:TGID_Z_EN: 0
; COMPUTE_PGM_RSRC2:TIDIG_COMP_CNT: 0
	.section	.text._ZN9rocsparseL16kernel_calculateILi1024ELi32ELb1EfiiEEvT4_T3_PKS2_S4_PKS1_PKT2_21rocsparse_index_base_S4_S4_S6_S4_S4_S6_S4_PS7_PNS_15floating_traitsIS7_E6data_tEPKSE_,"axG",@progbits,_ZN9rocsparseL16kernel_calculateILi1024ELi32ELb1EfiiEEvT4_T3_PKS2_S4_PKS1_PKT2_21rocsparse_index_base_S4_S4_S6_S4_S4_S6_S4_PS7_PNS_15floating_traitsIS7_E6data_tEPKSE_,comdat
	.globl	_ZN9rocsparseL16kernel_calculateILi1024ELi32ELb1EfiiEEvT4_T3_PKS2_S4_PKS1_PKT2_21rocsparse_index_base_S4_S4_S6_S4_S4_S6_S4_PS7_PNS_15floating_traitsIS7_E6data_tEPKSE_ ; -- Begin function _ZN9rocsparseL16kernel_calculateILi1024ELi32ELb1EfiiEEvT4_T3_PKS2_S4_PKS1_PKT2_21rocsparse_index_base_S4_S4_S6_S4_S4_S6_S4_PS7_PNS_15floating_traitsIS7_E6data_tEPKSE_
	.p2align	8
	.type	_ZN9rocsparseL16kernel_calculateILi1024ELi32ELb1EfiiEEvT4_T3_PKS2_S4_PKS1_PKT2_21rocsparse_index_base_S4_S4_S6_S4_S4_S6_S4_PS7_PNS_15floating_traitsIS7_E6data_tEPKSE_,@function
_ZN9rocsparseL16kernel_calculateILi1024ELi32ELb1EfiiEEvT4_T3_PKS2_S4_PKS1_PKT2_21rocsparse_index_base_S4_S4_S6_S4_S4_S6_S4_PS7_PNS_15floating_traitsIS7_E6data_tEPKSE_: ; @_ZN9rocsparseL16kernel_calculateILi1024ELi32ELb1EfiiEEvT4_T3_PKS2_S4_PKS1_PKT2_21rocsparse_index_base_S4_S4_S6_S4_S4_S6_S4_PS7_PNS_15floating_traitsIS7_E6data_tEPKSE_
; %bb.0:
	s_load_b32 s5, s[0:1], 0x0
	v_lshrrev_b32_e32 v15, 5, v0
	v_and_b32_e32 v16, 31, v0
	v_mov_b32_e32 v18, 0
	s_mov_b32 s6, exec_lo
	s_delay_alu instid0(VALU_DEP_3) | instskip(SKIP_1) | instid1(VALU_DEP_1)
	v_lshl_or_b32 v17, s15, 10, v15
	s_waitcnt lgkmcnt(0)
	v_cmpx_gt_i32_e64 s5, v17
	s_cbranch_execz .LBB7_33
; %bb.1:
	s_clause 0x3
	s_load_b32 s7, s[0:1], 0x28
	s_load_b256 s[8:15], s[0:1], 0x50
	s_load_b256 s[16:23], s[0:1], 0x30
	;; [unrolled: 1-line block ×3, first 2 shown]
	v_mov_b32_e32 v18, 0
	s_mov_b32 s33, 0
	s_waitcnt lgkmcnt(0)
	v_subrev_nc_u32_e32 v19, s7, v16
	s_branch .LBB7_5
.LBB7_2:                                ;   in Loop: Header=BB7_5 Depth=1
	s_or_b32 exec_lo, exec_lo, s36
.LBB7_3:                                ;   in Loop: Header=BB7_5 Depth=1
	s_delay_alu instid0(SALU_CYCLE_1)
	s_or_b32 exec_lo, exec_lo, s35
.LBB7_4:                                ;   in Loop: Header=BB7_5 Depth=1
	s_delay_alu instid0(SALU_CYCLE_1) | instskip(SKIP_1) | instid1(SALU_CYCLE_1)
	s_or_b32 exec_lo, exec_lo, s34
	s_add_i32 s33, s33, 1
	s_cmp_lg_u32 s33, 32
	s_cbranch_scc0 .LBB7_33
.LBB7_5:                                ; =>This Loop Header: Depth=1
                                        ;     Child Loop BB7_9 Depth 2
                                        ;       Child Loop BB7_12 Depth 3
                                        ;       Child Loop BB7_18 Depth 3
	;; [unrolled: 1-line block ×3, first 2 shown]
	v_lshl_add_u32 v1, s33, 5, v17
	s_mov_b32 s34, exec_lo
	s_delay_alu instid0(VALU_DEP_1)
	v_cmpx_gt_i32_e64 s5, v1
	s_cbranch_execz .LBB7_4
; %bb.6:                                ;   in Loop: Header=BB7_5 Depth=1
	v_ashrrev_i32_e32 v2, 31, v1
	s_mov_b32 s35, exec_lo
	s_delay_alu instid0(VALU_DEP_1) | instskip(NEXT) | instid1(VALU_DEP_1)
	v_lshlrev_b64 v[3:4], 2, v[1:2]
	v_add_co_u32 v5, vcc_lo, s26, v3
	s_delay_alu instid0(VALU_DEP_2)
	v_add_co_ci_u32_e32 v6, vcc_lo, s27, v4, vcc_lo
	v_add_co_u32 v7, vcc_lo, s24, v3
	v_add_co_ci_u32_e32 v8, vcc_lo, s25, v4, vcc_lo
	global_load_b32 v2, v[5:6], off
	global_load_b32 v5, v[7:8], off
	s_waitcnt vmcnt(1)
	v_subrev_nc_u32_e32 v20, s7, v2
	s_waitcnt vmcnt(0)
	v_add_nc_u32_e32 v2, v19, v5
	s_delay_alu instid0(VALU_DEP_1)
	v_cmpx_lt_i32_e64 v2, v20
	s_cbranch_execz .LBB7_3
; %bb.7:                                ;   in Loop: Header=BB7_5 Depth=1
	v_add_co_u32 v5, vcc_lo, s18, v3
	v_add_co_ci_u32_e32 v6, vcc_lo, s19, v4, vcc_lo
	v_add_co_u32 v3, vcc_lo, s16, v3
	v_add_co_ci_u32_e32 v4, vcc_lo, s17, v4, vcc_lo
	s_mov_b32 s36, 0
	global_load_b32 v5, v[5:6], off
	global_load_b32 v3, v[3:4], off
	s_waitcnt vmcnt(1)
	v_subrev_nc_u32_e32 v21, s7, v5
	s_waitcnt vmcnt(0)
	v_subrev_nc_u32_e32 v22, s7, v3
	v_cmp_lt_i32_e64 s2, v3, v5
	s_branch .LBB7_9
.LBB7_8:                                ;   in Loop: Header=BB7_9 Depth=2
	s_or_b32 exec_lo, exec_lo, s3
	v_add_f32_e32 v4, v4, v26
	v_cmp_eq_u32_e32 vcc_lo, v1, v3
	s_delay_alu instid0(VALU_DEP_2) | instskip(NEXT) | instid1(VALU_DEP_1)
	v_dual_cndmask_b32 v3, v26, v4 :: v_dual_add_nc_u32 v2, 32, v2
	v_cmp_ge_i32_e64 s4, v2, v20
	s_delay_alu instid0(VALU_DEP_2) | instskip(NEXT) | instid1(VALU_DEP_1)
	v_and_b32_e32 v3, 0x7fffffff, v3
	v_cmp_nlg_f32_e32 vcc_lo, 0x7f800000, v3
	v_cmp_gt_f32_e64 s3, v18, v3
	s_delay_alu instid0(VALU_DEP_1)
	s_or_b32 vcc_lo, vcc_lo, s3
	s_or_b32 s36, s4, s36
	v_cndmask_b32_e32 v18, v3, v18, vcc_lo
	s_and_not1_b32 exec_lo, exec_lo, s36
	s_cbranch_execz .LBB7_2
.LBB7_9:                                ;   Parent Loop BB7_5 Depth=1
                                        ; =>  This Loop Header: Depth=2
                                        ;       Child Loop BB7_12 Depth 3
                                        ;       Child Loop BB7_18 Depth 3
	;; [unrolled: 1-line block ×3, first 2 shown]
	v_ashrrev_i32_e32 v3, 31, v2
	v_mov_b32_e32 v25, 0
	s_delay_alu instid0(VALU_DEP_2) | instskip(NEXT) | instid1(VALU_DEP_1)
	v_lshlrev_b64 v[5:6], 2, v[2:3]
	v_add_co_u32 v3, vcc_lo, s28, v5
	s_delay_alu instid0(VALU_DEP_2) | instskip(SKIP_3) | instid1(VALU_DEP_1)
	v_add_co_ci_u32_e32 v4, vcc_lo, s29, v6, vcc_lo
	global_load_b32 v23, v[3:4], off
	s_waitcnt vmcnt(0)
	v_subrev_nc_u32_e32 v3, s7, v23
	v_ashrrev_i32_e32 v4, 31, v3
	s_delay_alu instid0(VALU_DEP_1) | instskip(NEXT) | instid1(VALU_DEP_1)
	v_lshlrev_b64 v[7:8], 2, v[3:4]
	v_add_co_u32 v9, vcc_lo, s18, v7
	s_delay_alu instid0(VALU_DEP_2)
	v_add_co_ci_u32_e32 v10, vcc_lo, s19, v8, vcc_lo
	v_add_co_u32 v11, vcc_lo, s8, v7
	v_add_co_ci_u32_e32 v12, vcc_lo, s9, v8, vcc_lo
	global_load_b32 v4, v[9:10], off
	v_add_co_u32 v7, vcc_lo, s22, v7
	v_add_co_ci_u32_e32 v8, vcc_lo, s23, v8, vcc_lo
	v_add_co_u32 v13, vcc_lo, s30, v5
	v_add_co_ci_u32_e32 v14, vcc_lo, s31, v6, vcc_lo
	global_load_b32 v11, v[11:12], off
	global_load_b32 v12, v[7:8], off
	s_waitcnt vmcnt(2)
	v_subrev_nc_u32_e32 v9, s7, v4
	s_delay_alu instid0(VALU_DEP_1) | instskip(SKIP_2) | instid1(VALU_DEP_2)
	v_ashrrev_i32_e32 v10, 31, v9
	s_waitcnt vmcnt(1)
	v_subrev_nc_u32_e32 v27, s7, v11
	v_lshlrev_b64 v[9:10], 2, v[9:10]
	s_delay_alu instid0(VALU_DEP_1) | instskip(NEXT) | instid1(VALU_DEP_2)
	v_add_co_u32 v7, vcc_lo, s14, v9
	v_add_co_ci_u32_e32 v8, vcc_lo, s15, v10, vcc_lo
	s_waitcnt vmcnt(0)
	v_cmp_lt_i32_e32 vcc_lo, v12, v11
	global_load_b32 v24, v[13:14], off
	global_load_b32 v4, v[7:8], off
	v_subrev_nc_u32_e32 v9, s7, v12
	v_mov_b32_e32 v7, v22
	s_and_b32 s3, s2, vcc_lo
	s_delay_alu instid0(SALU_CYCLE_1)
	s_and_saveexec_b32 s4, s3
	s_cbranch_execz .LBB7_15
; %bb.10:                               ;   in Loop: Header=BB7_9 Depth=2
	v_mov_b32_e32 v25, 0
	v_mov_b32_e32 v7, v22
	s_mov_b32 s37, 0
	s_branch .LBB7_12
.LBB7_11:                               ;   in Loop: Header=BB7_12 Depth=3
	s_or_b32 exec_lo, exec_lo, s3
	v_cmp_le_i32_e32 vcc_lo, v8, v10
	v_add_co_ci_u32_e32 v7, vcc_lo, 0, v7, vcc_lo
	v_cmp_ge_i32_e32 vcc_lo, v8, v10
	v_add_co_ci_u32_e32 v9, vcc_lo, 0, v9, vcc_lo
	s_delay_alu instid0(VALU_DEP_3) | instskip(NEXT) | instid1(VALU_DEP_2)
	v_cmp_ge_i32_e32 vcc_lo, v7, v21
	v_cmp_ge_i32_e64 s3, v9, v27
	s_delay_alu instid0(VALU_DEP_1) | instskip(NEXT) | instid1(SALU_CYCLE_1)
	s_or_b32 s3, vcc_lo, s3
	s_and_b32 s3, exec_lo, s3
	s_delay_alu instid0(SALU_CYCLE_1) | instskip(NEXT) | instid1(SALU_CYCLE_1)
	s_or_b32 s37, s3, s37
	s_and_not1_b32 exec_lo, exec_lo, s37
	s_cbranch_execz .LBB7_14
.LBB7_12:                               ;   Parent Loop BB7_5 Depth=1
                                        ;     Parent Loop BB7_9 Depth=2
                                        ; =>    This Inner Loop Header: Depth=3
	s_delay_alu instid0(VALU_DEP_1) | instskip(SKIP_2) | instid1(VALU_DEP_2)
	v_ashrrev_i32_e32 v8, 31, v7
	v_ashrrev_i32_e32 v10, 31, v9
	s_mov_b32 s3, exec_lo
	v_lshlrev_b64 v[11:12], 2, v[7:8]
	s_delay_alu instid0(VALU_DEP_2) | instskip(NEXT) | instid1(VALU_DEP_2)
	v_lshlrev_b64 v[13:14], 2, v[9:10]
	v_add_co_u32 v28, vcc_lo, s20, v11
	s_delay_alu instid0(VALU_DEP_3) | instskip(NEXT) | instid1(VALU_DEP_3)
	v_add_co_ci_u32_e32 v29, vcc_lo, s21, v12, vcc_lo
	v_add_co_u32 v30, vcc_lo, s10, v13
	s_delay_alu instid0(VALU_DEP_4)
	v_add_co_ci_u32_e32 v31, vcc_lo, s11, v14, vcc_lo
	global_load_b32 v8, v[28:29], off
	global_load_b32 v10, v[30:31], off
	s_waitcnt vmcnt(0)
	v_cmpx_eq_u32_e64 v8, v10
	s_cbranch_execz .LBB7_11
; %bb.13:                               ;   in Loop: Header=BB7_12 Depth=3
	v_add_co_u32 v13, vcc_lo, s12, v13
	v_add_co_ci_u32_e32 v14, vcc_lo, s13, v14, vcc_lo
	v_add_co_u32 v11, vcc_lo, s14, v11
	v_add_co_ci_u32_e32 v12, vcc_lo, s15, v12, vcc_lo
	global_load_b32 v13, v[13:14], off
	s_waitcnt vmcnt(0)
	v_ashrrev_i32_e32 v14, 31, v13
	s_delay_alu instid0(VALU_DEP_1) | instskip(NEXT) | instid1(VALU_DEP_1)
	v_lshlrev_b64 v[13:14], 2, v[13:14]
	v_add_co_u32 v13, vcc_lo, s14, v13
	s_delay_alu instid0(VALU_DEP_2)
	v_add_co_ci_u32_e32 v14, vcc_lo, s15, v14, vcc_lo
	s_clause 0x1
	global_load_b32 v11, v[11:12], off
	global_load_b32 v12, v[13:14], off
	s_waitcnt vmcnt(0)
	v_fmac_f32_e32 v25, v11, v12
	s_branch .LBB7_11
.LBB7_14:                               ;   in Loop: Header=BB7_9 Depth=2
	s_or_b32 exec_lo, exec_lo, s37
.LBB7_15:                               ;   in Loop: Header=BB7_9 Depth=2
	s_delay_alu instid0(SALU_CYCLE_1)
	s_or_b32 exec_lo, exec_lo, s4
	s_waitcnt vmcnt(1)
	v_sub_f32_e32 v26, v25, v24
	s_mov_b32 s4, exec_lo
	v_cmpx_lt_i32_e64 v9, v27
	s_cbranch_execz .LBB7_23
; %bb.16:                               ;   in Loop: Header=BB7_9 Depth=2
	v_ashrrev_i32_e32 v10, 31, v9
	s_mov_b32 s37, 0
                                        ; implicit-def: $sgpr38
                                        ; implicit-def: $sgpr40
                                        ; implicit-def: $sgpr39
	s_delay_alu instid0(VALU_DEP_1) | instskip(NEXT) | instid1(VALU_DEP_1)
	v_lshlrev_b64 v[11:12], 2, v[9:10]
	v_add_co_u32 v11, vcc_lo, s10, v11
	s_delay_alu instid0(VALU_DEP_2)
	v_add_co_ci_u32_e32 v12, vcc_lo, s11, v12, vcc_lo
	s_set_inst_prefetch_distance 0x1
	s_branch .LBB7_18
	.p2align	6
.LBB7_17:                               ;   in Loop: Header=BB7_18 Depth=3
	s_or_b32 exec_lo, exec_lo, s41
	s_delay_alu instid0(SALU_CYCLE_1) | instskip(NEXT) | instid1(SALU_CYCLE_1)
	s_and_b32 s3, exec_lo, s40
	s_or_b32 s37, s3, s37
	s_and_not1_b32 s3, s38, exec_lo
	s_and_b32 s38, s39, exec_lo
	s_delay_alu instid0(SALU_CYCLE_1)
	s_or_b32 s38, s3, s38
	s_and_not1_b32 exec_lo, exec_lo, s37
	s_cbranch_execz .LBB7_20
.LBB7_18:                               ;   Parent Loop BB7_5 Depth=1
                                        ;     Parent Loop BB7_9 Depth=2
                                        ; =>    This Inner Loop Header: Depth=3
	global_load_b32 v8, v[11:12], off
	v_dual_mov_b32 v14, v10 :: v_dual_mov_b32 v13, v9
	s_or_b32 s39, s39, exec_lo
	s_or_b32 s40, s40, exec_lo
	s_mov_b32 s41, exec_lo
                                        ; implicit-def: $vgpr9_vgpr10
	s_waitcnt vmcnt(0)
	v_subrev_nc_u32_e32 v8, s7, v8
	s_delay_alu instid0(VALU_DEP_1)
	v_cmpx_ne_u32_e64 v8, v1
	s_cbranch_execz .LBB7_17
; %bb.19:                               ;   in Loop: Header=BB7_18 Depth=3
	v_add_co_u32 v9, vcc_lo, v13, 1
	v_add_co_ci_u32_e32 v10, vcc_lo, 0, v14, vcc_lo
	v_add_co_u32 v11, s3, v11, 4
	s_delay_alu instid0(VALU_DEP_3) | instskip(SKIP_4) | instid1(SALU_CYCLE_1)
	v_cmp_ge_i32_e32 vcc_lo, v9, v27
	v_add_co_ci_u32_e64 v12, s3, 0, v12, s3
	s_and_not1_b32 s3, s40, exec_lo
	s_and_not1_b32 s39, s39, exec_lo
	s_and_b32 s40, vcc_lo, exec_lo
	s_or_b32 s40, s3, s40
	s_branch .LBB7_17
.LBB7_20:                               ;   in Loop: Header=BB7_9 Depth=2
	s_set_inst_prefetch_distance 0x2
	s_or_b32 exec_lo, exec_lo, s37
	s_and_saveexec_b32 s3, s38
	s_delay_alu instid0(SALU_CYCLE_1)
	s_xor_b32 s3, exec_lo, s3
	s_cbranch_execz .LBB7_22
; %bb.21:                               ;   in Loop: Header=BB7_9 Depth=2
	v_lshlrev_b64 v[8:9], 2, v[13:14]
	s_delay_alu instid0(VALU_DEP_1) | instskip(NEXT) | instid1(VALU_DEP_2)
	v_add_co_u32 v8, vcc_lo, s12, v8
	v_add_co_ci_u32_e32 v9, vcc_lo, s13, v9, vcc_lo
	global_load_b32 v8, v[8:9], off
	s_waitcnt vmcnt(0)
	v_ashrrev_i32_e32 v9, 31, v8
	s_delay_alu instid0(VALU_DEP_1) | instskip(NEXT) | instid1(VALU_DEP_1)
	v_lshlrev_b64 v[8:9], 2, v[8:9]
	v_add_co_u32 v8, vcc_lo, s14, v8
	s_delay_alu instid0(VALU_DEP_2)
	v_add_co_ci_u32_e32 v9, vcc_lo, s15, v9, vcc_lo
	global_load_b32 v8, v[8:9], off
	s_waitcnt vmcnt(0)
	v_add_f32_e32 v26, v26, v8
.LBB7_22:                               ;   in Loop: Header=BB7_9 Depth=2
	s_or_b32 exec_lo, exec_lo, s3
.LBB7_23:                               ;   in Loop: Header=BB7_9 Depth=2
	s_delay_alu instid0(SALU_CYCLE_1) | instskip(NEXT) | instid1(SALU_CYCLE_1)
	s_or_b32 exec_lo, exec_lo, s4
	s_mov_b32 s4, exec_lo
	v_cmpx_lt_i32_e64 v7, v21
	s_cbranch_execz .LBB7_31
; %bb.24:                               ;   in Loop: Header=BB7_9 Depth=2
	v_ashrrev_i32_e32 v8, 31, v7
	s_mov_b32 s37, 0
                                        ; implicit-def: $sgpr38
                                        ; implicit-def: $sgpr40
                                        ; implicit-def: $sgpr39
	s_delay_alu instid0(VALU_DEP_1) | instskip(NEXT) | instid1(VALU_DEP_1)
	v_lshlrev_b64 v[9:10], 2, v[7:8]
	v_add_co_u32 v9, vcc_lo, s20, v9
	s_delay_alu instid0(VALU_DEP_2)
	v_add_co_ci_u32_e32 v10, vcc_lo, s21, v10, vcc_lo
	s_set_inst_prefetch_distance 0x1
	s_branch .LBB7_26
	.p2align	6
.LBB7_25:                               ;   in Loop: Header=BB7_26 Depth=3
	s_or_b32 exec_lo, exec_lo, s41
	s_delay_alu instid0(SALU_CYCLE_1) | instskip(NEXT) | instid1(SALU_CYCLE_1)
	s_and_b32 s3, exec_lo, s40
	s_or_b32 s37, s3, s37
	s_and_not1_b32 s3, s38, exec_lo
	s_and_b32 s38, s39, exec_lo
	s_delay_alu instid0(SALU_CYCLE_1)
	s_or_b32 s38, s3, s38
	s_and_not1_b32 exec_lo, exec_lo, s37
	s_cbranch_execz .LBB7_28
.LBB7_26:                               ;   Parent Loop BB7_5 Depth=1
                                        ;     Parent Loop BB7_9 Depth=2
                                        ; =>    This Inner Loop Header: Depth=3
	global_load_b32 v13, v[9:10], off
	v_dual_mov_b32 v12, v8 :: v_dual_mov_b32 v11, v7
	s_or_b32 s39, s39, exec_lo
	s_or_b32 s40, s40, exec_lo
	s_mov_b32 s41, exec_lo
                                        ; implicit-def: $vgpr7_vgpr8
	s_waitcnt vmcnt(0)
	v_cmpx_ne_u32_e64 v13, v23
	s_cbranch_execz .LBB7_25
; %bb.27:                               ;   in Loop: Header=BB7_26 Depth=3
	v_add_co_u32 v7, vcc_lo, v11, 1
	v_add_co_ci_u32_e32 v8, vcc_lo, 0, v12, vcc_lo
	v_add_co_u32 v9, s3, v9, 4
	s_delay_alu instid0(VALU_DEP_3) | instskip(SKIP_4) | instid1(SALU_CYCLE_1)
	v_cmp_ge_i32_e32 vcc_lo, v7, v21
	v_add_co_ci_u32_e64 v10, s3, 0, v10, s3
	s_and_not1_b32 s3, s40, exec_lo
	s_and_not1_b32 s39, s39, exec_lo
	s_and_b32 s40, vcc_lo, exec_lo
	s_or_b32 s40, s3, s40
	s_branch .LBB7_25
.LBB7_28:                               ;   in Loop: Header=BB7_9 Depth=2
	s_set_inst_prefetch_distance 0x2
	s_or_b32 exec_lo, exec_lo, s37
	s_and_saveexec_b32 s3, s38
	s_delay_alu instid0(SALU_CYCLE_1)
	s_xor_b32 s3, exec_lo, s3
	s_cbranch_execz .LBB7_30
; %bb.29:                               ;   in Loop: Header=BB7_9 Depth=2
	v_lshlrev_b64 v[7:8], 2, v[11:12]
	s_delay_alu instid0(VALU_DEP_1) | instskip(NEXT) | instid1(VALU_DEP_2)
	v_add_co_u32 v7, vcc_lo, s14, v7
	v_add_co_ci_u32_e32 v8, vcc_lo, s15, v8, vcc_lo
	global_load_b32 v7, v[7:8], off
	s_waitcnt vmcnt(0)
	v_fmac_f32_e32 v26, v7, v4
.LBB7_30:                               ;   in Loop: Header=BB7_9 Depth=2
	s_or_b32 exec_lo, exec_lo, s3
.LBB7_31:                               ;   in Loop: Header=BB7_9 Depth=2
	s_delay_alu instid0(SALU_CYCLE_1) | instskip(SKIP_2) | instid1(VALU_DEP_1)
	s_or_b32 exec_lo, exec_lo, s4
	v_sub_f32_e32 v7, v24, v25
	s_waitcnt vmcnt(0)
	v_div_scale_f32 v8, null, v4, v4, v7
	s_delay_alu instid0(VALU_DEP_1) | instskip(SKIP_2) | instid1(VALU_DEP_1)
	v_rcp_f32_e32 v9, v8
	s_waitcnt_depctr 0xfff
	v_fma_f32 v10, -v8, v9, 1.0
	v_fmac_f32_e32 v9, v10, v9
	v_div_scale_f32 v10, vcc_lo, v7, v4, v7
	s_delay_alu instid0(VALU_DEP_1) | instskip(NEXT) | instid1(VALU_DEP_1)
	v_mul_f32_e32 v11, v10, v9
	v_fma_f32 v12, -v8, v11, v10
	s_delay_alu instid0(VALU_DEP_1) | instskip(NEXT) | instid1(VALU_DEP_1)
	v_fmac_f32_e32 v11, v12, v9
	v_fma_f32 v8, -v8, v11, v10
	s_delay_alu instid0(VALU_DEP_1) | instskip(SKIP_1) | instid1(VALU_DEP_2)
	v_div_fmas_f32 v8, v8, v9, v11
	v_cmp_gt_i32_e32 vcc_lo, v1, v3
	v_div_fixup_f32 v8, v8, v4, v7
	s_delay_alu instid0(VALU_DEP_1) | instskip(NEXT) | instid1(VALU_DEP_1)
	v_cndmask_b32_e32 v7, v7, v8, vcc_lo
	v_cmp_class_f32_e64 s4, v7, 0x1f8
	s_delay_alu instid0(VALU_DEP_1)
	s_and_saveexec_b32 s3, s4
	s_cbranch_execz .LBB7_8
; %bb.32:                               ;   in Loop: Header=BB7_9 Depth=2
	v_add_co_u32 v5, vcc_lo, s14, v5
	v_add_co_ci_u32_e32 v6, vcc_lo, s15, v6, vcc_lo
	global_store_b32 v[5:6], v7, off
	s_branch .LBB7_8
.LBB7_33:
	s_or_b32 exec_lo, exec_lo, s6
	v_mbcnt_lo_u32_b32 v1, -1, 0
	s_mov_b32 s2, exec_lo
	s_delay_alu instid0(VALU_DEP_1) | instskip(SKIP_2) | instid1(VALU_DEP_3)
	v_xor_b32_e32 v2, 16, v1
	v_xor_b32_e32 v3, 8, v1
	;; [unrolled: 1-line block ×3, first 2 shown]
	v_cmp_gt_i32_e32 vcc_lo, 32, v2
	v_cndmask_b32_e32 v2, v1, v2, vcc_lo
	s_delay_alu instid0(VALU_DEP_4) | instskip(SKIP_1) | instid1(VALU_DEP_1)
	v_cmp_gt_i32_e32 vcc_lo, 32, v3
	v_cndmask_b32_e32 v3, v1, v3, vcc_lo
	v_lshlrev_b32_e32 v3, 2, v3
	s_delay_alu instid0(VALU_DEP_4)
	v_lshlrev_b32_e32 v2, 2, v2
	ds_bpermute_b32 v2, v2, v18
	s_waitcnt lgkmcnt(0)
	v_cmp_lt_f32_e32 vcc_lo, v18, v2
	v_cndmask_b32_e32 v2, v18, v2, vcc_lo
	v_cmp_gt_i32_e32 vcc_lo, 32, v4
	ds_bpermute_b32 v3, v3, v2
	v_cndmask_b32_e32 v4, v1, v4, vcc_lo
	s_delay_alu instid0(VALU_DEP_1)
	v_lshlrev_b32_e32 v4, 2, v4
	s_waitcnt lgkmcnt(0)
	v_cmp_lt_f32_e32 vcc_lo, v2, v3
	v_cndmask_b32_e32 v2, v2, v3, vcc_lo
	ds_bpermute_b32 v3, v4, v2
	v_xor_b32_e32 v4, 2, v1
	s_delay_alu instid0(VALU_DEP_1) | instskip(SKIP_1) | instid1(VALU_DEP_1)
	v_cmp_gt_i32_e32 vcc_lo, 32, v4
	v_cndmask_b32_e32 v4, v1, v4, vcc_lo
	v_lshlrev_b32_e32 v4, 2, v4
	s_waitcnt lgkmcnt(0)
	v_cmp_lt_f32_e32 vcc_lo, v2, v3
	v_cndmask_b32_e32 v2, v2, v3, vcc_lo
	ds_bpermute_b32 v3, v4, v2
	v_xor_b32_e32 v4, 1, v1
	s_delay_alu instid0(VALU_DEP_1) | instskip(SKIP_3) | instid1(VALU_DEP_2)
	v_cmp_gt_i32_e32 vcc_lo, 32, v4
	v_cndmask_b32_e32 v4, v1, v4, vcc_lo
	s_waitcnt lgkmcnt(0)
	v_cmp_lt_f32_e32 vcc_lo, v2, v3
	v_dual_cndmask_b32 v1, v2, v3 :: v_dual_lshlrev_b32 v2, 2, v4
	ds_bpermute_b32 v2, v2, v1
	v_cmpx_eq_u32_e32 31, v16
	s_cbranch_execz .LBB7_35
; %bb.34:
	s_waitcnt lgkmcnt(0)
	v_cmp_lt_f32_e32 vcc_lo, v1, v2
	v_lshlrev_b32_e32 v3, 2, v15
	v_cndmask_b32_e32 v1, v1, v2, vcc_lo
	ds_store_b32 v3, v1
.LBB7_35:
	s_or_b32 exec_lo, exec_lo, s2
	v_lshlrev_b32_e32 v1, 2, v0
	s_mov_b32 s2, exec_lo
	s_waitcnt lgkmcnt(0)
	s_waitcnt_vscnt null, 0x0
	s_barrier
	buffer_gl0_inv
	v_cmpx_gt_u32_e32 16, v0
	s_cbranch_execz .LBB7_37
; %bb.36:
	ds_load_2addr_b32 v[2:3], v1 offset1:16
	s_waitcnt lgkmcnt(0)
	v_cmp_lt_f32_e32 vcc_lo, v2, v3
	v_cndmask_b32_e32 v2, v2, v3, vcc_lo
	ds_store_b32 v1, v2
.LBB7_37:
	s_or_b32 exec_lo, exec_lo, s2
	s_delay_alu instid0(SALU_CYCLE_1)
	s_mov_b32 s2, exec_lo
	s_waitcnt lgkmcnt(0)
	s_barrier
	buffer_gl0_inv
	v_cmpx_gt_u32_e32 8, v0
	s_cbranch_execz .LBB7_39
; %bb.38:
	ds_load_2addr_b32 v[2:3], v1 offset1:8
	s_waitcnt lgkmcnt(0)
	v_cmp_lt_f32_e32 vcc_lo, v2, v3
	v_cndmask_b32_e32 v2, v2, v3, vcc_lo
	ds_store_b32 v1, v2
.LBB7_39:
	s_or_b32 exec_lo, exec_lo, s2
	s_delay_alu instid0(SALU_CYCLE_1)
	s_mov_b32 s2, exec_lo
	s_waitcnt lgkmcnt(0)
	s_barrier
	buffer_gl0_inv
	v_cmpx_gt_u32_e32 4, v0
	s_cbranch_execz .LBB7_41
; %bb.40:
	ds_load_2addr_b32 v[2:3], v1 offset1:4
	s_waitcnt lgkmcnt(0)
	v_cmp_lt_f32_e32 vcc_lo, v2, v3
	v_cndmask_b32_e32 v2, v2, v3, vcc_lo
	ds_store_b32 v1, v2
.LBB7_41:
	s_or_b32 exec_lo, exec_lo, s2
	s_delay_alu instid0(SALU_CYCLE_1)
	s_mov_b32 s2, exec_lo
	s_waitcnt lgkmcnt(0)
	s_barrier
	buffer_gl0_inv
	v_cmpx_gt_u32_e32 2, v0
	s_cbranch_execz .LBB7_43
; %bb.42:
	ds_load_2addr_b32 v[2:3], v1 offset1:2
	s_waitcnt lgkmcnt(0)
	v_cmp_lt_f32_e32 vcc_lo, v2, v3
	v_cndmask_b32_e32 v2, v2, v3, vcc_lo
	ds_store_b32 v1, v2
.LBB7_43:
	s_or_b32 exec_lo, exec_lo, s2
	v_cmp_eq_u32_e32 vcc_lo, 0, v0
	s_waitcnt lgkmcnt(0)
	s_barrier
	buffer_gl0_inv
	s_and_saveexec_b32 s3, vcc_lo
	s_cbranch_execz .LBB7_45
; %bb.44:
	v_mov_b32_e32 v2, 0
	ds_load_b64 v[0:1], v2
	s_waitcnt lgkmcnt(0)
	v_cmp_lt_f32_e64 s2, v0, v1
	s_delay_alu instid0(VALU_DEP_1)
	v_cndmask_b32_e64 v0, v0, v1, s2
	ds_store_b32 v2, v0
.LBB7_45:
	s_or_b32 exec_lo, exec_lo, s3
	s_waitcnt lgkmcnt(0)
	s_barrier
	buffer_gl0_inv
	s_and_saveexec_b32 s2, vcc_lo
	s_cbranch_execz .LBB7_50
; %bb.46:
	s_load_b128 s[4:7], s[0:1], 0x70
	v_mov_b32_e32 v2, 0
	s_mov_b32 s1, 0
                                        ; implicit-def: $sgpr2
                                        ; implicit-def: $sgpr3
	ds_load_b32 v0, v2
	s_waitcnt lgkmcnt(0)
	s_load_b32 s0, s[6:7], 0x0
	s_waitcnt lgkmcnt(0)
	v_div_scale_f32 v3, null, s0, s0, v0
	v_div_scale_f32 v6, vcc_lo, v0, s0, v0
	s_delay_alu instid0(VALU_DEP_2) | instskip(SKIP_2) | instid1(VALU_DEP_1)
	v_rcp_f32_e32 v4, v3
	s_waitcnt_depctr 0xfff
	v_fma_f32 v5, -v3, v4, 1.0
	v_fmac_f32_e32 v4, v5, v4
	s_delay_alu instid0(VALU_DEP_1) | instskip(SKIP_2) | instid1(VALU_DEP_1)
	v_mul_f32_e32 v5, v6, v4
	global_load_b32 v1, v2, s[4:5] glc
	v_fma_f32 v7, -v3, v5, v6
	v_fmac_f32_e32 v5, v7, v4
	s_delay_alu instid0(VALU_DEP_1) | instskip(NEXT) | instid1(VALU_DEP_1)
	v_fma_f32 v3, -v3, v5, v6
	v_div_fmas_f32 v3, v3, v4, v5
	s_delay_alu instid0(VALU_DEP_1) | instskip(NEXT) | instid1(VALU_DEP_1)
	v_div_fixup_f32 v0, v3, s0, v0
	v_cmp_eq_f32_e32 vcc_lo, 0, v0
	s_waitcnt vmcnt(0)
	v_cmp_eq_u32_e64 s6, 0x80000000, v1
	s_set_inst_prefetch_distance 0x1
	s_branch .LBB7_48
	.p2align	6
.LBB7_47:                               ;   in Loop: Header=BB7_48 Depth=1
	s_or_b32 exec_lo, exec_lo, s7
	s_delay_alu instid0(SALU_CYCLE_1) | instskip(NEXT) | instid1(SALU_CYCLE_1)
	s_and_b32 s0, exec_lo, s2
	s_or_b32 s1, s0, s1
	s_and_not1_b32 s0, s6, exec_lo
	s_and_b32 s6, s3, exec_lo
	s_delay_alu instid0(SALU_CYCLE_1)
	s_or_b32 s6, s0, s6
	s_and_not1_b32 exec_lo, exec_lo, s1
	s_cbranch_execz .LBB7_50
.LBB7_48:                               ; =>This Inner Loop Header: Depth=1
	v_cmp_lt_f32_e64 s0, v1, v0
	s_delay_alu instid0(VALU_DEP_2) | instskip(SKIP_2) | instid1(VALU_DEP_1)
	s_and_b32 s7, vcc_lo, s6
	s_and_not1_b32 s3, s3, exec_lo
	s_or_b32 s2, s2, exec_lo
	s_or_b32 s0, s0, s7
	s_delay_alu instid0(SALU_CYCLE_1)
	s_and_saveexec_b32 s7, s0
	s_cbranch_execz .LBB7_47
; %bb.49:                               ;   in Loop: Header=BB7_48 Depth=1
	global_atomic_cmpswap_b32 v3, v2, v[0:1], s[4:5] glc
	s_and_not1_b32 s3, s3, exec_lo
	s_and_not1_b32 s2, s2, exec_lo
	s_waitcnt vmcnt(0)
	v_cmp_eq_u32_e64 s0, v3, v1
	s_delay_alu instid0(VALU_DEP_1) | instskip(SKIP_1) | instid1(SALU_CYCLE_1)
	v_cndmask_b32_e64 v1, v3, v1, s0
	s_and_b32 s0, s0, exec_lo
	s_or_b32 s2, s2, s0
	s_delay_alu instid0(VALU_DEP_1) | instskip(SKIP_1) | instid1(VALU_DEP_2)
	v_cmp_class_f32_e64 s6, v1, 32
	v_mov_b32_e32 v1, v3
	s_and_b32 s6, s6, exec_lo
	s_delay_alu instid0(SALU_CYCLE_1)
	s_or_b32 s3, s3, s6
                                        ; implicit-def: $sgpr6
	s_branch .LBB7_47
.LBB7_50:
	s_set_inst_prefetch_distance 0x2
	s_endpgm
	.section	.rodata,"a",@progbits
	.p2align	6, 0x0
	.amdhsa_kernel _ZN9rocsparseL16kernel_calculateILi1024ELi32ELb1EfiiEEvT4_T3_PKS2_S4_PKS1_PKT2_21rocsparse_index_base_S4_S4_S6_S4_S4_S6_S4_PS7_PNS_15floating_traitsIS7_E6data_tEPKSE_
		.amdhsa_group_segment_fixed_size 128
		.amdhsa_private_segment_fixed_size 0
		.amdhsa_kernarg_size 128
		.amdhsa_user_sgpr_count 15
		.amdhsa_user_sgpr_dispatch_ptr 0
		.amdhsa_user_sgpr_queue_ptr 0
		.amdhsa_user_sgpr_kernarg_segment_ptr 1
		.amdhsa_user_sgpr_dispatch_id 0
		.amdhsa_user_sgpr_private_segment_size 0
		.amdhsa_wavefront_size32 1
		.amdhsa_uses_dynamic_stack 0
		.amdhsa_enable_private_segment 0
		.amdhsa_system_sgpr_workgroup_id_x 1
		.amdhsa_system_sgpr_workgroup_id_y 0
		.amdhsa_system_sgpr_workgroup_id_z 0
		.amdhsa_system_sgpr_workgroup_info 0
		.amdhsa_system_vgpr_workitem_id 0
		.amdhsa_next_free_vgpr 32
		.amdhsa_next_free_sgpr 42
		.amdhsa_reserve_vcc 1
		.amdhsa_float_round_mode_32 0
		.amdhsa_float_round_mode_16_64 0
		.amdhsa_float_denorm_mode_32 3
		.amdhsa_float_denorm_mode_16_64 3
		.amdhsa_dx10_clamp 1
		.amdhsa_ieee_mode 1
		.amdhsa_fp16_overflow 0
		.amdhsa_workgroup_processor_mode 1
		.amdhsa_memory_ordered 1
		.amdhsa_forward_progress 0
		.amdhsa_shared_vgpr_count 0
		.amdhsa_exception_fp_ieee_invalid_op 0
		.amdhsa_exception_fp_denorm_src 0
		.amdhsa_exception_fp_ieee_div_zero 0
		.amdhsa_exception_fp_ieee_overflow 0
		.amdhsa_exception_fp_ieee_underflow 0
		.amdhsa_exception_fp_ieee_inexact 0
		.amdhsa_exception_int_div_zero 0
	.end_amdhsa_kernel
	.section	.text._ZN9rocsparseL16kernel_calculateILi1024ELi32ELb1EfiiEEvT4_T3_PKS2_S4_PKS1_PKT2_21rocsparse_index_base_S4_S4_S6_S4_S4_S6_S4_PS7_PNS_15floating_traitsIS7_E6data_tEPKSE_,"axG",@progbits,_ZN9rocsparseL16kernel_calculateILi1024ELi32ELb1EfiiEEvT4_T3_PKS2_S4_PKS1_PKT2_21rocsparse_index_base_S4_S4_S6_S4_S4_S6_S4_PS7_PNS_15floating_traitsIS7_E6data_tEPKSE_,comdat
.Lfunc_end7:
	.size	_ZN9rocsparseL16kernel_calculateILi1024ELi32ELb1EfiiEEvT4_T3_PKS2_S4_PKS1_PKT2_21rocsparse_index_base_S4_S4_S6_S4_S4_S6_S4_PS7_PNS_15floating_traitsIS7_E6data_tEPKSE_, .Lfunc_end7-_ZN9rocsparseL16kernel_calculateILi1024ELi32ELb1EfiiEEvT4_T3_PKS2_S4_PKS1_PKT2_21rocsparse_index_base_S4_S4_S6_S4_S4_S6_S4_PS7_PNS_15floating_traitsIS7_E6data_tEPKSE_
                                        ; -- End function
	.section	.AMDGPU.csdata,"",@progbits
; Kernel info:
; codeLenInByte = 2664
; NumSgprs: 44
; NumVgprs: 32
; ScratchSize: 0
; MemoryBound: 0
; FloatMode: 240
; IeeeMode: 1
; LDSByteSize: 128 bytes/workgroup (compile time only)
; SGPRBlocks: 5
; VGPRBlocks: 3
; NumSGPRsForWavesPerEU: 44
; NumVGPRsForWavesPerEU: 32
; Occupancy: 16
; WaveLimiterHint : 1
; COMPUTE_PGM_RSRC2:SCRATCH_EN: 0
; COMPUTE_PGM_RSRC2:USER_SGPR: 15
; COMPUTE_PGM_RSRC2:TRAP_HANDLER: 0
; COMPUTE_PGM_RSRC2:TGID_X_EN: 1
; COMPUTE_PGM_RSRC2:TGID_Y_EN: 0
; COMPUTE_PGM_RSRC2:TGID_Z_EN: 0
; COMPUTE_PGM_RSRC2:TIDIG_COMP_CNT: 0
	.section	.text._ZN9rocsparseL16kernel_calculateILi1024ELi64ELb1EfiiEEvT4_T3_PKS2_S4_PKS1_PKT2_21rocsparse_index_base_S4_S4_S6_S4_S4_S6_S4_PS7_PNS_15floating_traitsIS7_E6data_tEPKSE_,"axG",@progbits,_ZN9rocsparseL16kernel_calculateILi1024ELi64ELb1EfiiEEvT4_T3_PKS2_S4_PKS1_PKT2_21rocsparse_index_base_S4_S4_S6_S4_S4_S6_S4_PS7_PNS_15floating_traitsIS7_E6data_tEPKSE_,comdat
	.globl	_ZN9rocsparseL16kernel_calculateILi1024ELi64ELb1EfiiEEvT4_T3_PKS2_S4_PKS1_PKT2_21rocsparse_index_base_S4_S4_S6_S4_S4_S6_S4_PS7_PNS_15floating_traitsIS7_E6data_tEPKSE_ ; -- Begin function _ZN9rocsparseL16kernel_calculateILi1024ELi64ELb1EfiiEEvT4_T3_PKS2_S4_PKS1_PKT2_21rocsparse_index_base_S4_S4_S6_S4_S4_S6_S4_PS7_PNS_15floating_traitsIS7_E6data_tEPKSE_
	.p2align	8
	.type	_ZN9rocsparseL16kernel_calculateILi1024ELi64ELb1EfiiEEvT4_T3_PKS2_S4_PKS1_PKT2_21rocsparse_index_base_S4_S4_S6_S4_S4_S6_S4_PS7_PNS_15floating_traitsIS7_E6data_tEPKSE_,@function
_ZN9rocsparseL16kernel_calculateILi1024ELi64ELb1EfiiEEvT4_T3_PKS2_S4_PKS1_PKT2_21rocsparse_index_base_S4_S4_S6_S4_S4_S6_S4_PS7_PNS_15floating_traitsIS7_E6data_tEPKSE_: ; @_ZN9rocsparseL16kernel_calculateILi1024ELi64ELb1EfiiEEvT4_T3_PKS2_S4_PKS1_PKT2_21rocsparse_index_base_S4_S4_S6_S4_S4_S6_S4_PS7_PNS_15floating_traitsIS7_E6data_tEPKSE_
; %bb.0:
	s_load_b32 s5, s[0:1], 0x0
	v_lshrrev_b32_e32 v15, 6, v0
	v_and_b32_e32 v16, 63, v0
	v_mov_b32_e32 v18, 0
	s_mov_b32 s6, exec_lo
	s_delay_alu instid0(VALU_DEP_3) | instskip(SKIP_1) | instid1(VALU_DEP_1)
	v_lshl_or_b32 v17, s15, 10, v15
	s_waitcnt lgkmcnt(0)
	v_cmpx_gt_i32_e64 s5, v17
	s_cbranch_execz .LBB8_33
; %bb.1:
	s_clause 0x3
	s_load_b32 s7, s[0:1], 0x28
	s_load_b256 s[8:15], s[0:1], 0x50
	s_load_b256 s[16:23], s[0:1], 0x30
	s_load_b256 s[24:31], s[0:1], 0x8
	v_mov_b32_e32 v18, 0
	s_mov_b32 s33, 0
	s_waitcnt lgkmcnt(0)
	v_subrev_nc_u32_e32 v19, s7, v16
	s_branch .LBB8_5
.LBB8_2:                                ;   in Loop: Header=BB8_5 Depth=1
	s_or_b32 exec_lo, exec_lo, s36
.LBB8_3:                                ;   in Loop: Header=BB8_5 Depth=1
	s_delay_alu instid0(SALU_CYCLE_1)
	s_or_b32 exec_lo, exec_lo, s35
.LBB8_4:                                ;   in Loop: Header=BB8_5 Depth=1
	s_delay_alu instid0(SALU_CYCLE_1) | instskip(SKIP_1) | instid1(SALU_CYCLE_1)
	s_or_b32 exec_lo, exec_lo, s34
	s_add_i32 s33, s33, 1
	s_cmp_lg_u32 s33, 64
	s_cbranch_scc0 .LBB8_33
.LBB8_5:                                ; =>This Loop Header: Depth=1
                                        ;     Child Loop BB8_9 Depth 2
                                        ;       Child Loop BB8_12 Depth 3
                                        ;       Child Loop BB8_18 Depth 3
	;; [unrolled: 1-line block ×3, first 2 shown]
	v_lshl_add_u32 v1, s33, 4, v17
	s_mov_b32 s34, exec_lo
	s_delay_alu instid0(VALU_DEP_1)
	v_cmpx_gt_i32_e64 s5, v1
	s_cbranch_execz .LBB8_4
; %bb.6:                                ;   in Loop: Header=BB8_5 Depth=1
	v_ashrrev_i32_e32 v2, 31, v1
	s_mov_b32 s35, exec_lo
	s_delay_alu instid0(VALU_DEP_1) | instskip(NEXT) | instid1(VALU_DEP_1)
	v_lshlrev_b64 v[3:4], 2, v[1:2]
	v_add_co_u32 v5, vcc_lo, s26, v3
	s_delay_alu instid0(VALU_DEP_2)
	v_add_co_ci_u32_e32 v6, vcc_lo, s27, v4, vcc_lo
	v_add_co_u32 v7, vcc_lo, s24, v3
	v_add_co_ci_u32_e32 v8, vcc_lo, s25, v4, vcc_lo
	global_load_b32 v2, v[5:6], off
	global_load_b32 v5, v[7:8], off
	s_waitcnt vmcnt(1)
	v_subrev_nc_u32_e32 v20, s7, v2
	s_waitcnt vmcnt(0)
	v_add_nc_u32_e32 v2, v19, v5
	s_delay_alu instid0(VALU_DEP_1)
	v_cmpx_lt_i32_e64 v2, v20
	s_cbranch_execz .LBB8_3
; %bb.7:                                ;   in Loop: Header=BB8_5 Depth=1
	v_add_co_u32 v5, vcc_lo, s18, v3
	v_add_co_ci_u32_e32 v6, vcc_lo, s19, v4, vcc_lo
	v_add_co_u32 v3, vcc_lo, s16, v3
	v_add_co_ci_u32_e32 v4, vcc_lo, s17, v4, vcc_lo
	s_mov_b32 s36, 0
	global_load_b32 v5, v[5:6], off
	global_load_b32 v3, v[3:4], off
	s_waitcnt vmcnt(1)
	v_subrev_nc_u32_e32 v21, s7, v5
	s_waitcnt vmcnt(0)
	v_subrev_nc_u32_e32 v22, s7, v3
	v_cmp_lt_i32_e64 s2, v3, v5
	s_branch .LBB8_9
.LBB8_8:                                ;   in Loop: Header=BB8_9 Depth=2
	s_or_b32 exec_lo, exec_lo, s3
	v_add_f32_e32 v4, v4, v26
	v_cmp_eq_u32_e32 vcc_lo, v1, v3
	s_delay_alu instid0(VALU_DEP_2) | instskip(NEXT) | instid1(VALU_DEP_1)
	v_dual_cndmask_b32 v3, v26, v4 :: v_dual_add_nc_u32 v2, 64, v2
	v_cmp_ge_i32_e64 s4, v2, v20
	s_delay_alu instid0(VALU_DEP_2) | instskip(NEXT) | instid1(VALU_DEP_1)
	v_and_b32_e32 v3, 0x7fffffff, v3
	v_cmp_nlg_f32_e32 vcc_lo, 0x7f800000, v3
	v_cmp_gt_f32_e64 s3, v18, v3
	s_delay_alu instid0(VALU_DEP_1)
	s_or_b32 vcc_lo, vcc_lo, s3
	s_or_b32 s36, s4, s36
	v_cndmask_b32_e32 v18, v3, v18, vcc_lo
	s_and_not1_b32 exec_lo, exec_lo, s36
	s_cbranch_execz .LBB8_2
.LBB8_9:                                ;   Parent Loop BB8_5 Depth=1
                                        ; =>  This Loop Header: Depth=2
                                        ;       Child Loop BB8_12 Depth 3
                                        ;       Child Loop BB8_18 Depth 3
	;; [unrolled: 1-line block ×3, first 2 shown]
	v_ashrrev_i32_e32 v3, 31, v2
	v_mov_b32_e32 v25, 0
	s_delay_alu instid0(VALU_DEP_2) | instskip(NEXT) | instid1(VALU_DEP_1)
	v_lshlrev_b64 v[5:6], 2, v[2:3]
	v_add_co_u32 v3, vcc_lo, s28, v5
	s_delay_alu instid0(VALU_DEP_2) | instskip(SKIP_3) | instid1(VALU_DEP_1)
	v_add_co_ci_u32_e32 v4, vcc_lo, s29, v6, vcc_lo
	global_load_b32 v23, v[3:4], off
	s_waitcnt vmcnt(0)
	v_subrev_nc_u32_e32 v3, s7, v23
	v_ashrrev_i32_e32 v4, 31, v3
	s_delay_alu instid0(VALU_DEP_1) | instskip(NEXT) | instid1(VALU_DEP_1)
	v_lshlrev_b64 v[7:8], 2, v[3:4]
	v_add_co_u32 v9, vcc_lo, s18, v7
	s_delay_alu instid0(VALU_DEP_2)
	v_add_co_ci_u32_e32 v10, vcc_lo, s19, v8, vcc_lo
	v_add_co_u32 v11, vcc_lo, s8, v7
	v_add_co_ci_u32_e32 v12, vcc_lo, s9, v8, vcc_lo
	global_load_b32 v4, v[9:10], off
	v_add_co_u32 v7, vcc_lo, s22, v7
	v_add_co_ci_u32_e32 v8, vcc_lo, s23, v8, vcc_lo
	v_add_co_u32 v13, vcc_lo, s30, v5
	v_add_co_ci_u32_e32 v14, vcc_lo, s31, v6, vcc_lo
	global_load_b32 v11, v[11:12], off
	global_load_b32 v12, v[7:8], off
	s_waitcnt vmcnt(2)
	v_subrev_nc_u32_e32 v9, s7, v4
	s_delay_alu instid0(VALU_DEP_1) | instskip(SKIP_2) | instid1(VALU_DEP_2)
	v_ashrrev_i32_e32 v10, 31, v9
	s_waitcnt vmcnt(1)
	v_subrev_nc_u32_e32 v27, s7, v11
	v_lshlrev_b64 v[9:10], 2, v[9:10]
	s_delay_alu instid0(VALU_DEP_1) | instskip(NEXT) | instid1(VALU_DEP_2)
	v_add_co_u32 v7, vcc_lo, s14, v9
	v_add_co_ci_u32_e32 v8, vcc_lo, s15, v10, vcc_lo
	s_waitcnt vmcnt(0)
	v_cmp_lt_i32_e32 vcc_lo, v12, v11
	global_load_b32 v24, v[13:14], off
	global_load_b32 v4, v[7:8], off
	v_subrev_nc_u32_e32 v9, s7, v12
	v_mov_b32_e32 v7, v22
	s_and_b32 s3, s2, vcc_lo
	s_delay_alu instid0(SALU_CYCLE_1)
	s_and_saveexec_b32 s4, s3
	s_cbranch_execz .LBB8_15
; %bb.10:                               ;   in Loop: Header=BB8_9 Depth=2
	v_mov_b32_e32 v25, 0
	v_mov_b32_e32 v7, v22
	s_mov_b32 s37, 0
	s_branch .LBB8_12
.LBB8_11:                               ;   in Loop: Header=BB8_12 Depth=3
	s_or_b32 exec_lo, exec_lo, s3
	v_cmp_le_i32_e32 vcc_lo, v8, v10
	v_add_co_ci_u32_e32 v7, vcc_lo, 0, v7, vcc_lo
	v_cmp_ge_i32_e32 vcc_lo, v8, v10
	v_add_co_ci_u32_e32 v9, vcc_lo, 0, v9, vcc_lo
	s_delay_alu instid0(VALU_DEP_3) | instskip(NEXT) | instid1(VALU_DEP_2)
	v_cmp_ge_i32_e32 vcc_lo, v7, v21
	v_cmp_ge_i32_e64 s3, v9, v27
	s_delay_alu instid0(VALU_DEP_1) | instskip(NEXT) | instid1(SALU_CYCLE_1)
	s_or_b32 s3, vcc_lo, s3
	s_and_b32 s3, exec_lo, s3
	s_delay_alu instid0(SALU_CYCLE_1) | instskip(NEXT) | instid1(SALU_CYCLE_1)
	s_or_b32 s37, s3, s37
	s_and_not1_b32 exec_lo, exec_lo, s37
	s_cbranch_execz .LBB8_14
.LBB8_12:                               ;   Parent Loop BB8_5 Depth=1
                                        ;     Parent Loop BB8_9 Depth=2
                                        ; =>    This Inner Loop Header: Depth=3
	s_delay_alu instid0(VALU_DEP_1) | instskip(SKIP_2) | instid1(VALU_DEP_2)
	v_ashrrev_i32_e32 v8, 31, v7
	v_ashrrev_i32_e32 v10, 31, v9
	s_mov_b32 s3, exec_lo
	v_lshlrev_b64 v[11:12], 2, v[7:8]
	s_delay_alu instid0(VALU_DEP_2) | instskip(NEXT) | instid1(VALU_DEP_2)
	v_lshlrev_b64 v[13:14], 2, v[9:10]
	v_add_co_u32 v28, vcc_lo, s20, v11
	s_delay_alu instid0(VALU_DEP_3) | instskip(NEXT) | instid1(VALU_DEP_3)
	v_add_co_ci_u32_e32 v29, vcc_lo, s21, v12, vcc_lo
	v_add_co_u32 v30, vcc_lo, s10, v13
	s_delay_alu instid0(VALU_DEP_4)
	v_add_co_ci_u32_e32 v31, vcc_lo, s11, v14, vcc_lo
	global_load_b32 v8, v[28:29], off
	global_load_b32 v10, v[30:31], off
	s_waitcnt vmcnt(0)
	v_cmpx_eq_u32_e64 v8, v10
	s_cbranch_execz .LBB8_11
; %bb.13:                               ;   in Loop: Header=BB8_12 Depth=3
	v_add_co_u32 v13, vcc_lo, s12, v13
	v_add_co_ci_u32_e32 v14, vcc_lo, s13, v14, vcc_lo
	v_add_co_u32 v11, vcc_lo, s14, v11
	v_add_co_ci_u32_e32 v12, vcc_lo, s15, v12, vcc_lo
	global_load_b32 v13, v[13:14], off
	s_waitcnt vmcnt(0)
	v_ashrrev_i32_e32 v14, 31, v13
	s_delay_alu instid0(VALU_DEP_1) | instskip(NEXT) | instid1(VALU_DEP_1)
	v_lshlrev_b64 v[13:14], 2, v[13:14]
	v_add_co_u32 v13, vcc_lo, s14, v13
	s_delay_alu instid0(VALU_DEP_2)
	v_add_co_ci_u32_e32 v14, vcc_lo, s15, v14, vcc_lo
	s_clause 0x1
	global_load_b32 v11, v[11:12], off
	global_load_b32 v12, v[13:14], off
	s_waitcnt vmcnt(0)
	v_fmac_f32_e32 v25, v11, v12
	s_branch .LBB8_11
.LBB8_14:                               ;   in Loop: Header=BB8_9 Depth=2
	s_or_b32 exec_lo, exec_lo, s37
.LBB8_15:                               ;   in Loop: Header=BB8_9 Depth=2
	s_delay_alu instid0(SALU_CYCLE_1)
	s_or_b32 exec_lo, exec_lo, s4
	s_waitcnt vmcnt(1)
	v_sub_f32_e32 v26, v25, v24
	s_mov_b32 s4, exec_lo
	v_cmpx_lt_i32_e64 v9, v27
	s_cbranch_execz .LBB8_23
; %bb.16:                               ;   in Loop: Header=BB8_9 Depth=2
	v_ashrrev_i32_e32 v10, 31, v9
	s_mov_b32 s37, 0
                                        ; implicit-def: $sgpr38
                                        ; implicit-def: $sgpr40
                                        ; implicit-def: $sgpr39
	s_delay_alu instid0(VALU_DEP_1) | instskip(NEXT) | instid1(VALU_DEP_1)
	v_lshlrev_b64 v[11:12], 2, v[9:10]
	v_add_co_u32 v11, vcc_lo, s10, v11
	s_delay_alu instid0(VALU_DEP_2)
	v_add_co_ci_u32_e32 v12, vcc_lo, s11, v12, vcc_lo
	s_set_inst_prefetch_distance 0x1
	s_branch .LBB8_18
	.p2align	6
.LBB8_17:                               ;   in Loop: Header=BB8_18 Depth=3
	s_or_b32 exec_lo, exec_lo, s41
	s_delay_alu instid0(SALU_CYCLE_1) | instskip(NEXT) | instid1(SALU_CYCLE_1)
	s_and_b32 s3, exec_lo, s40
	s_or_b32 s37, s3, s37
	s_and_not1_b32 s3, s38, exec_lo
	s_and_b32 s38, s39, exec_lo
	s_delay_alu instid0(SALU_CYCLE_1)
	s_or_b32 s38, s3, s38
	s_and_not1_b32 exec_lo, exec_lo, s37
	s_cbranch_execz .LBB8_20
.LBB8_18:                               ;   Parent Loop BB8_5 Depth=1
                                        ;     Parent Loop BB8_9 Depth=2
                                        ; =>    This Inner Loop Header: Depth=3
	global_load_b32 v8, v[11:12], off
	v_dual_mov_b32 v14, v10 :: v_dual_mov_b32 v13, v9
	s_or_b32 s39, s39, exec_lo
	s_or_b32 s40, s40, exec_lo
	s_mov_b32 s41, exec_lo
                                        ; implicit-def: $vgpr9_vgpr10
	s_waitcnt vmcnt(0)
	v_subrev_nc_u32_e32 v8, s7, v8
	s_delay_alu instid0(VALU_DEP_1)
	v_cmpx_ne_u32_e64 v8, v1
	s_cbranch_execz .LBB8_17
; %bb.19:                               ;   in Loop: Header=BB8_18 Depth=3
	v_add_co_u32 v9, vcc_lo, v13, 1
	v_add_co_ci_u32_e32 v10, vcc_lo, 0, v14, vcc_lo
	v_add_co_u32 v11, s3, v11, 4
	s_delay_alu instid0(VALU_DEP_3) | instskip(SKIP_4) | instid1(SALU_CYCLE_1)
	v_cmp_ge_i32_e32 vcc_lo, v9, v27
	v_add_co_ci_u32_e64 v12, s3, 0, v12, s3
	s_and_not1_b32 s3, s40, exec_lo
	s_and_not1_b32 s39, s39, exec_lo
	s_and_b32 s40, vcc_lo, exec_lo
	s_or_b32 s40, s3, s40
	s_branch .LBB8_17
.LBB8_20:                               ;   in Loop: Header=BB8_9 Depth=2
	s_set_inst_prefetch_distance 0x2
	s_or_b32 exec_lo, exec_lo, s37
	s_and_saveexec_b32 s3, s38
	s_delay_alu instid0(SALU_CYCLE_1)
	s_xor_b32 s3, exec_lo, s3
	s_cbranch_execz .LBB8_22
; %bb.21:                               ;   in Loop: Header=BB8_9 Depth=2
	v_lshlrev_b64 v[8:9], 2, v[13:14]
	s_delay_alu instid0(VALU_DEP_1) | instskip(NEXT) | instid1(VALU_DEP_2)
	v_add_co_u32 v8, vcc_lo, s12, v8
	v_add_co_ci_u32_e32 v9, vcc_lo, s13, v9, vcc_lo
	global_load_b32 v8, v[8:9], off
	s_waitcnt vmcnt(0)
	v_ashrrev_i32_e32 v9, 31, v8
	s_delay_alu instid0(VALU_DEP_1) | instskip(NEXT) | instid1(VALU_DEP_1)
	v_lshlrev_b64 v[8:9], 2, v[8:9]
	v_add_co_u32 v8, vcc_lo, s14, v8
	s_delay_alu instid0(VALU_DEP_2)
	v_add_co_ci_u32_e32 v9, vcc_lo, s15, v9, vcc_lo
	global_load_b32 v8, v[8:9], off
	s_waitcnt vmcnt(0)
	v_add_f32_e32 v26, v26, v8
.LBB8_22:                               ;   in Loop: Header=BB8_9 Depth=2
	s_or_b32 exec_lo, exec_lo, s3
.LBB8_23:                               ;   in Loop: Header=BB8_9 Depth=2
	s_delay_alu instid0(SALU_CYCLE_1) | instskip(NEXT) | instid1(SALU_CYCLE_1)
	s_or_b32 exec_lo, exec_lo, s4
	s_mov_b32 s4, exec_lo
	v_cmpx_lt_i32_e64 v7, v21
	s_cbranch_execz .LBB8_31
; %bb.24:                               ;   in Loop: Header=BB8_9 Depth=2
	v_ashrrev_i32_e32 v8, 31, v7
	s_mov_b32 s37, 0
                                        ; implicit-def: $sgpr38
                                        ; implicit-def: $sgpr40
                                        ; implicit-def: $sgpr39
	s_delay_alu instid0(VALU_DEP_1) | instskip(NEXT) | instid1(VALU_DEP_1)
	v_lshlrev_b64 v[9:10], 2, v[7:8]
	v_add_co_u32 v9, vcc_lo, s20, v9
	s_delay_alu instid0(VALU_DEP_2)
	v_add_co_ci_u32_e32 v10, vcc_lo, s21, v10, vcc_lo
	s_set_inst_prefetch_distance 0x1
	s_branch .LBB8_26
	.p2align	6
.LBB8_25:                               ;   in Loop: Header=BB8_26 Depth=3
	s_or_b32 exec_lo, exec_lo, s41
	s_delay_alu instid0(SALU_CYCLE_1) | instskip(NEXT) | instid1(SALU_CYCLE_1)
	s_and_b32 s3, exec_lo, s40
	s_or_b32 s37, s3, s37
	s_and_not1_b32 s3, s38, exec_lo
	s_and_b32 s38, s39, exec_lo
	s_delay_alu instid0(SALU_CYCLE_1)
	s_or_b32 s38, s3, s38
	s_and_not1_b32 exec_lo, exec_lo, s37
	s_cbranch_execz .LBB8_28
.LBB8_26:                               ;   Parent Loop BB8_5 Depth=1
                                        ;     Parent Loop BB8_9 Depth=2
                                        ; =>    This Inner Loop Header: Depth=3
	global_load_b32 v13, v[9:10], off
	v_dual_mov_b32 v12, v8 :: v_dual_mov_b32 v11, v7
	s_or_b32 s39, s39, exec_lo
	s_or_b32 s40, s40, exec_lo
	s_mov_b32 s41, exec_lo
                                        ; implicit-def: $vgpr7_vgpr8
	s_waitcnt vmcnt(0)
	v_cmpx_ne_u32_e64 v13, v23
	s_cbranch_execz .LBB8_25
; %bb.27:                               ;   in Loop: Header=BB8_26 Depth=3
	v_add_co_u32 v7, vcc_lo, v11, 1
	v_add_co_ci_u32_e32 v8, vcc_lo, 0, v12, vcc_lo
	v_add_co_u32 v9, s3, v9, 4
	s_delay_alu instid0(VALU_DEP_3) | instskip(SKIP_4) | instid1(SALU_CYCLE_1)
	v_cmp_ge_i32_e32 vcc_lo, v7, v21
	v_add_co_ci_u32_e64 v10, s3, 0, v10, s3
	s_and_not1_b32 s3, s40, exec_lo
	s_and_not1_b32 s39, s39, exec_lo
	s_and_b32 s40, vcc_lo, exec_lo
	s_or_b32 s40, s3, s40
	s_branch .LBB8_25
.LBB8_28:                               ;   in Loop: Header=BB8_9 Depth=2
	s_set_inst_prefetch_distance 0x2
	s_or_b32 exec_lo, exec_lo, s37
	s_and_saveexec_b32 s3, s38
	s_delay_alu instid0(SALU_CYCLE_1)
	s_xor_b32 s3, exec_lo, s3
	s_cbranch_execz .LBB8_30
; %bb.29:                               ;   in Loop: Header=BB8_9 Depth=2
	v_lshlrev_b64 v[7:8], 2, v[11:12]
	s_delay_alu instid0(VALU_DEP_1) | instskip(NEXT) | instid1(VALU_DEP_2)
	v_add_co_u32 v7, vcc_lo, s14, v7
	v_add_co_ci_u32_e32 v8, vcc_lo, s15, v8, vcc_lo
	global_load_b32 v7, v[7:8], off
	s_waitcnt vmcnt(0)
	v_fmac_f32_e32 v26, v7, v4
.LBB8_30:                               ;   in Loop: Header=BB8_9 Depth=2
	s_or_b32 exec_lo, exec_lo, s3
.LBB8_31:                               ;   in Loop: Header=BB8_9 Depth=2
	s_delay_alu instid0(SALU_CYCLE_1) | instskip(SKIP_2) | instid1(VALU_DEP_1)
	s_or_b32 exec_lo, exec_lo, s4
	v_sub_f32_e32 v7, v24, v25
	s_waitcnt vmcnt(0)
	v_div_scale_f32 v8, null, v4, v4, v7
	s_delay_alu instid0(VALU_DEP_1) | instskip(SKIP_2) | instid1(VALU_DEP_1)
	v_rcp_f32_e32 v9, v8
	s_waitcnt_depctr 0xfff
	v_fma_f32 v10, -v8, v9, 1.0
	v_fmac_f32_e32 v9, v10, v9
	v_div_scale_f32 v10, vcc_lo, v7, v4, v7
	s_delay_alu instid0(VALU_DEP_1) | instskip(NEXT) | instid1(VALU_DEP_1)
	v_mul_f32_e32 v11, v10, v9
	v_fma_f32 v12, -v8, v11, v10
	s_delay_alu instid0(VALU_DEP_1) | instskip(NEXT) | instid1(VALU_DEP_1)
	v_fmac_f32_e32 v11, v12, v9
	v_fma_f32 v8, -v8, v11, v10
	s_delay_alu instid0(VALU_DEP_1) | instskip(SKIP_1) | instid1(VALU_DEP_2)
	v_div_fmas_f32 v8, v8, v9, v11
	v_cmp_gt_i32_e32 vcc_lo, v1, v3
	v_div_fixup_f32 v8, v8, v4, v7
	s_delay_alu instid0(VALU_DEP_1) | instskip(NEXT) | instid1(VALU_DEP_1)
	v_cndmask_b32_e32 v7, v7, v8, vcc_lo
	v_cmp_class_f32_e64 s4, v7, 0x1f8
	s_delay_alu instid0(VALU_DEP_1)
	s_and_saveexec_b32 s3, s4
	s_cbranch_execz .LBB8_8
; %bb.32:                               ;   in Loop: Header=BB8_9 Depth=2
	v_add_co_u32 v5, vcc_lo, s14, v5
	v_add_co_ci_u32_e32 v6, vcc_lo, s15, v6, vcc_lo
	global_store_b32 v[5:6], v7, off
	s_branch .LBB8_8
.LBB8_33:
	s_or_b32 exec_lo, exec_lo, s6
	v_mbcnt_lo_u32_b32 v1, -1, 0
	s_mov_b32 s2, exec_lo
	s_delay_alu instid0(VALU_DEP_1) | instskip(SKIP_2) | instid1(VALU_DEP_3)
	v_or_b32_e32 v2, 32, v1
	v_xor_b32_e32 v3, 16, v1
	v_xor_b32_e32 v4, 8, v1
	v_cmp_gt_i32_e32 vcc_lo, 32, v2
	v_cndmask_b32_e32 v2, v1, v2, vcc_lo
	s_delay_alu instid0(VALU_DEP_4) | instskip(SKIP_1) | instid1(VALU_DEP_1)
	v_cmp_gt_i32_e32 vcc_lo, 32, v3
	v_cndmask_b32_e32 v3, v1, v3, vcc_lo
	v_lshlrev_b32_e32 v3, 2, v3
	s_delay_alu instid0(VALU_DEP_4)
	v_lshlrev_b32_e32 v2, 2, v2
	ds_bpermute_b32 v2, v2, v18
	s_waitcnt lgkmcnt(0)
	v_cmp_lt_f32_e32 vcc_lo, v18, v2
	v_cndmask_b32_e32 v2, v18, v2, vcc_lo
	v_cmp_gt_i32_e32 vcc_lo, 32, v4
	ds_bpermute_b32 v3, v3, v2
	v_cndmask_b32_e32 v4, v1, v4, vcc_lo
	s_delay_alu instid0(VALU_DEP_1)
	v_lshlrev_b32_e32 v4, 2, v4
	s_waitcnt lgkmcnt(0)
	v_cmp_lt_f32_e32 vcc_lo, v2, v3
	v_cndmask_b32_e32 v2, v2, v3, vcc_lo
	ds_bpermute_b32 v3, v4, v2
	v_xor_b32_e32 v4, 4, v1
	s_delay_alu instid0(VALU_DEP_1) | instskip(SKIP_1) | instid1(VALU_DEP_1)
	v_cmp_gt_i32_e32 vcc_lo, 32, v4
	v_cndmask_b32_e32 v4, v1, v4, vcc_lo
	v_lshlrev_b32_e32 v4, 2, v4
	s_waitcnt lgkmcnt(0)
	v_cmp_lt_f32_e32 vcc_lo, v2, v3
	v_cndmask_b32_e32 v2, v2, v3, vcc_lo
	ds_bpermute_b32 v3, v4, v2
	v_xor_b32_e32 v4, 2, v1
	s_delay_alu instid0(VALU_DEP_1) | instskip(SKIP_1) | instid1(VALU_DEP_1)
	v_cmp_gt_i32_e32 vcc_lo, 32, v4
	v_cndmask_b32_e32 v4, v1, v4, vcc_lo
	v_lshlrev_b32_e32 v4, 2, v4
	s_waitcnt lgkmcnt(0)
	v_cmp_lt_f32_e32 vcc_lo, v2, v3
	v_cndmask_b32_e32 v2, v2, v3, vcc_lo
	ds_bpermute_b32 v3, v4, v2
	v_xor_b32_e32 v4, 1, v1
	s_delay_alu instid0(VALU_DEP_1) | instskip(SKIP_3) | instid1(VALU_DEP_2)
	v_cmp_gt_i32_e32 vcc_lo, 32, v4
	v_cndmask_b32_e32 v4, v1, v4, vcc_lo
	s_waitcnt lgkmcnt(0)
	v_cmp_lt_f32_e32 vcc_lo, v2, v3
	v_dual_cndmask_b32 v1, v2, v3 :: v_dual_lshlrev_b32 v2, 2, v4
	ds_bpermute_b32 v2, v2, v1
	v_cmpx_eq_u32_e32 63, v16
	s_cbranch_execz .LBB8_35
; %bb.34:
	s_waitcnt lgkmcnt(0)
	v_cmp_lt_f32_e32 vcc_lo, v1, v2
	v_lshlrev_b32_e32 v3, 2, v15
	v_cndmask_b32_e32 v1, v1, v2, vcc_lo
	ds_store_b32 v3, v1
.LBB8_35:
	s_or_b32 exec_lo, exec_lo, s2
	v_lshlrev_b32_e32 v1, 2, v0
	s_mov_b32 s2, exec_lo
	s_waitcnt lgkmcnt(0)
	s_waitcnt_vscnt null, 0x0
	s_barrier
	buffer_gl0_inv
	v_cmpx_gt_u32_e32 8, v0
	s_cbranch_execz .LBB8_37
; %bb.36:
	ds_load_2addr_b32 v[2:3], v1 offset1:8
	s_waitcnt lgkmcnt(0)
	v_cmp_lt_f32_e32 vcc_lo, v2, v3
	v_cndmask_b32_e32 v2, v2, v3, vcc_lo
	ds_store_b32 v1, v2
.LBB8_37:
	s_or_b32 exec_lo, exec_lo, s2
	s_delay_alu instid0(SALU_CYCLE_1)
	s_mov_b32 s2, exec_lo
	s_waitcnt lgkmcnt(0)
	s_barrier
	buffer_gl0_inv
	v_cmpx_gt_u32_e32 4, v0
	s_cbranch_execz .LBB8_39
; %bb.38:
	ds_load_2addr_b32 v[2:3], v1 offset1:4
	s_waitcnt lgkmcnt(0)
	v_cmp_lt_f32_e32 vcc_lo, v2, v3
	v_cndmask_b32_e32 v2, v2, v3, vcc_lo
	ds_store_b32 v1, v2
.LBB8_39:
	s_or_b32 exec_lo, exec_lo, s2
	s_delay_alu instid0(SALU_CYCLE_1)
	s_mov_b32 s2, exec_lo
	s_waitcnt lgkmcnt(0)
	s_barrier
	buffer_gl0_inv
	v_cmpx_gt_u32_e32 2, v0
	s_cbranch_execz .LBB8_41
; %bb.40:
	ds_load_2addr_b32 v[2:3], v1 offset1:2
	s_waitcnt lgkmcnt(0)
	v_cmp_lt_f32_e32 vcc_lo, v2, v3
	v_cndmask_b32_e32 v2, v2, v3, vcc_lo
	ds_store_b32 v1, v2
.LBB8_41:
	s_or_b32 exec_lo, exec_lo, s2
	v_cmp_eq_u32_e32 vcc_lo, 0, v0
	s_waitcnt lgkmcnt(0)
	s_barrier
	buffer_gl0_inv
	s_and_saveexec_b32 s3, vcc_lo
	s_cbranch_execz .LBB8_43
; %bb.42:
	v_mov_b32_e32 v2, 0
	ds_load_b64 v[0:1], v2
	s_waitcnt lgkmcnt(0)
	v_cmp_lt_f32_e64 s2, v0, v1
	s_delay_alu instid0(VALU_DEP_1)
	v_cndmask_b32_e64 v0, v0, v1, s2
	ds_store_b32 v2, v0
.LBB8_43:
	s_or_b32 exec_lo, exec_lo, s3
	s_waitcnt lgkmcnt(0)
	s_barrier
	buffer_gl0_inv
	s_and_saveexec_b32 s2, vcc_lo
	s_cbranch_execz .LBB8_48
; %bb.44:
	s_load_b128 s[4:7], s[0:1], 0x70
	v_mov_b32_e32 v2, 0
	s_mov_b32 s1, 0
                                        ; implicit-def: $sgpr2
                                        ; implicit-def: $sgpr3
	ds_load_b32 v0, v2
	s_waitcnt lgkmcnt(0)
	s_load_b32 s0, s[6:7], 0x0
	s_waitcnt lgkmcnt(0)
	v_div_scale_f32 v3, null, s0, s0, v0
	v_div_scale_f32 v6, vcc_lo, v0, s0, v0
	s_delay_alu instid0(VALU_DEP_2) | instskip(SKIP_2) | instid1(VALU_DEP_1)
	v_rcp_f32_e32 v4, v3
	s_waitcnt_depctr 0xfff
	v_fma_f32 v5, -v3, v4, 1.0
	v_fmac_f32_e32 v4, v5, v4
	s_delay_alu instid0(VALU_DEP_1) | instskip(SKIP_2) | instid1(VALU_DEP_1)
	v_mul_f32_e32 v5, v6, v4
	global_load_b32 v1, v2, s[4:5] glc
	v_fma_f32 v7, -v3, v5, v6
	v_fmac_f32_e32 v5, v7, v4
	s_delay_alu instid0(VALU_DEP_1) | instskip(NEXT) | instid1(VALU_DEP_1)
	v_fma_f32 v3, -v3, v5, v6
	v_div_fmas_f32 v3, v3, v4, v5
	s_delay_alu instid0(VALU_DEP_1) | instskip(NEXT) | instid1(VALU_DEP_1)
	v_div_fixup_f32 v0, v3, s0, v0
	v_cmp_eq_f32_e32 vcc_lo, 0, v0
	s_waitcnt vmcnt(0)
	v_cmp_eq_u32_e64 s6, 0x80000000, v1
	s_set_inst_prefetch_distance 0x1
	s_branch .LBB8_46
	.p2align	6
.LBB8_45:                               ;   in Loop: Header=BB8_46 Depth=1
	s_or_b32 exec_lo, exec_lo, s7
	s_delay_alu instid0(SALU_CYCLE_1) | instskip(NEXT) | instid1(SALU_CYCLE_1)
	s_and_b32 s0, exec_lo, s2
	s_or_b32 s1, s0, s1
	s_and_not1_b32 s0, s6, exec_lo
	s_and_b32 s6, s3, exec_lo
	s_delay_alu instid0(SALU_CYCLE_1)
	s_or_b32 s6, s0, s6
	s_and_not1_b32 exec_lo, exec_lo, s1
	s_cbranch_execz .LBB8_48
.LBB8_46:                               ; =>This Inner Loop Header: Depth=1
	v_cmp_lt_f32_e64 s0, v1, v0
	s_delay_alu instid0(VALU_DEP_2) | instskip(SKIP_2) | instid1(VALU_DEP_1)
	s_and_b32 s7, vcc_lo, s6
	s_and_not1_b32 s3, s3, exec_lo
	s_or_b32 s2, s2, exec_lo
	s_or_b32 s0, s0, s7
	s_delay_alu instid0(SALU_CYCLE_1)
	s_and_saveexec_b32 s7, s0
	s_cbranch_execz .LBB8_45
; %bb.47:                               ;   in Loop: Header=BB8_46 Depth=1
	global_atomic_cmpswap_b32 v3, v2, v[0:1], s[4:5] glc
	s_and_not1_b32 s3, s3, exec_lo
	s_and_not1_b32 s2, s2, exec_lo
	s_waitcnt vmcnt(0)
	v_cmp_eq_u32_e64 s0, v3, v1
	s_delay_alu instid0(VALU_DEP_1) | instskip(SKIP_1) | instid1(SALU_CYCLE_1)
	v_cndmask_b32_e64 v1, v3, v1, s0
	s_and_b32 s0, s0, exec_lo
	s_or_b32 s2, s2, s0
	s_delay_alu instid0(VALU_DEP_1) | instskip(SKIP_1) | instid1(VALU_DEP_2)
	v_cmp_class_f32_e64 s6, v1, 32
	v_mov_b32_e32 v1, v3
	s_and_b32 s6, s6, exec_lo
	s_delay_alu instid0(SALU_CYCLE_1)
	s_or_b32 s3, s3, s6
                                        ; implicit-def: $sgpr6
	s_branch .LBB8_45
.LBB8_48:
	s_set_inst_prefetch_distance 0x2
	s_endpgm
	.section	.rodata,"a",@progbits
	.p2align	6, 0x0
	.amdhsa_kernel _ZN9rocsparseL16kernel_calculateILi1024ELi64ELb1EfiiEEvT4_T3_PKS2_S4_PKS1_PKT2_21rocsparse_index_base_S4_S4_S6_S4_S4_S6_S4_PS7_PNS_15floating_traitsIS7_E6data_tEPKSE_
		.amdhsa_group_segment_fixed_size 64
		.amdhsa_private_segment_fixed_size 0
		.amdhsa_kernarg_size 128
		.amdhsa_user_sgpr_count 15
		.amdhsa_user_sgpr_dispatch_ptr 0
		.amdhsa_user_sgpr_queue_ptr 0
		.amdhsa_user_sgpr_kernarg_segment_ptr 1
		.amdhsa_user_sgpr_dispatch_id 0
		.amdhsa_user_sgpr_private_segment_size 0
		.amdhsa_wavefront_size32 1
		.amdhsa_uses_dynamic_stack 0
		.amdhsa_enable_private_segment 0
		.amdhsa_system_sgpr_workgroup_id_x 1
		.amdhsa_system_sgpr_workgroup_id_y 0
		.amdhsa_system_sgpr_workgroup_id_z 0
		.amdhsa_system_sgpr_workgroup_info 0
		.amdhsa_system_vgpr_workitem_id 0
		.amdhsa_next_free_vgpr 32
		.amdhsa_next_free_sgpr 42
		.amdhsa_reserve_vcc 1
		.amdhsa_float_round_mode_32 0
		.amdhsa_float_round_mode_16_64 0
		.amdhsa_float_denorm_mode_32 3
		.amdhsa_float_denorm_mode_16_64 3
		.amdhsa_dx10_clamp 1
		.amdhsa_ieee_mode 1
		.amdhsa_fp16_overflow 0
		.amdhsa_workgroup_processor_mode 1
		.amdhsa_memory_ordered 1
		.amdhsa_forward_progress 0
		.amdhsa_shared_vgpr_count 0
		.amdhsa_exception_fp_ieee_invalid_op 0
		.amdhsa_exception_fp_denorm_src 0
		.amdhsa_exception_fp_ieee_div_zero 0
		.amdhsa_exception_fp_ieee_overflow 0
		.amdhsa_exception_fp_ieee_underflow 0
		.amdhsa_exception_fp_ieee_inexact 0
		.amdhsa_exception_int_div_zero 0
	.end_amdhsa_kernel
	.section	.text._ZN9rocsparseL16kernel_calculateILi1024ELi64ELb1EfiiEEvT4_T3_PKS2_S4_PKS1_PKT2_21rocsparse_index_base_S4_S4_S6_S4_S4_S6_S4_PS7_PNS_15floating_traitsIS7_E6data_tEPKSE_,"axG",@progbits,_ZN9rocsparseL16kernel_calculateILi1024ELi64ELb1EfiiEEvT4_T3_PKS2_S4_PKS1_PKT2_21rocsparse_index_base_S4_S4_S6_S4_S4_S6_S4_PS7_PNS_15floating_traitsIS7_E6data_tEPKSE_,comdat
.Lfunc_end8:
	.size	_ZN9rocsparseL16kernel_calculateILi1024ELi64ELb1EfiiEEvT4_T3_PKS2_S4_PKS1_PKT2_21rocsparse_index_base_S4_S4_S6_S4_S4_S6_S4_PS7_PNS_15floating_traitsIS7_E6data_tEPKSE_, .Lfunc_end8-_ZN9rocsparseL16kernel_calculateILi1024ELi64ELb1EfiiEEvT4_T3_PKS2_S4_PKS1_PKT2_21rocsparse_index_base_S4_S4_S6_S4_S4_S6_S4_PS7_PNS_15floating_traitsIS7_E6data_tEPKSE_
                                        ; -- End function
	.section	.AMDGPU.csdata,"",@progbits
; Kernel info:
; codeLenInByte = 2640
; NumSgprs: 44
; NumVgprs: 32
; ScratchSize: 0
; MemoryBound: 0
; FloatMode: 240
; IeeeMode: 1
; LDSByteSize: 64 bytes/workgroup (compile time only)
; SGPRBlocks: 5
; VGPRBlocks: 3
; NumSGPRsForWavesPerEU: 44
; NumVGPRsForWavesPerEU: 32
; Occupancy: 16
; WaveLimiterHint : 1
; COMPUTE_PGM_RSRC2:SCRATCH_EN: 0
; COMPUTE_PGM_RSRC2:USER_SGPR: 15
; COMPUTE_PGM_RSRC2:TRAP_HANDLER: 0
; COMPUTE_PGM_RSRC2:TGID_X_EN: 1
; COMPUTE_PGM_RSRC2:TGID_Y_EN: 0
; COMPUTE_PGM_RSRC2:TGID_Z_EN: 0
; COMPUTE_PGM_RSRC2:TIDIG_COMP_CNT: 0
	.section	.text._ZN9rocsparseL16kernel_calculateILi1024ELi1ELb0EfiiEEvT4_T3_PKS2_S4_PKS1_PKT2_21rocsparse_index_base_S4_S4_S6_S4_S4_S6_S4_PS7_PNS_15floating_traitsIS7_E6data_tEPKSE_,"axG",@progbits,_ZN9rocsparseL16kernel_calculateILi1024ELi1ELb0EfiiEEvT4_T3_PKS2_S4_PKS1_PKT2_21rocsparse_index_base_S4_S4_S6_S4_S4_S6_S4_PS7_PNS_15floating_traitsIS7_E6data_tEPKSE_,comdat
	.globl	_ZN9rocsparseL16kernel_calculateILi1024ELi1ELb0EfiiEEvT4_T3_PKS2_S4_PKS1_PKT2_21rocsparse_index_base_S4_S4_S6_S4_S4_S6_S4_PS7_PNS_15floating_traitsIS7_E6data_tEPKSE_ ; -- Begin function _ZN9rocsparseL16kernel_calculateILi1024ELi1ELb0EfiiEEvT4_T3_PKS2_S4_PKS1_PKT2_21rocsparse_index_base_S4_S4_S6_S4_S4_S6_S4_PS7_PNS_15floating_traitsIS7_E6data_tEPKSE_
	.p2align	8
	.type	_ZN9rocsparseL16kernel_calculateILi1024ELi1ELb0EfiiEEvT4_T3_PKS2_S4_PKS1_PKT2_21rocsparse_index_base_S4_S4_S6_S4_S4_S6_S4_PS7_PNS_15floating_traitsIS7_E6data_tEPKSE_,@function
_ZN9rocsparseL16kernel_calculateILi1024ELi1ELb0EfiiEEvT4_T3_PKS2_S4_PKS1_PKT2_21rocsparse_index_base_S4_S4_S6_S4_S4_S6_S4_PS7_PNS_15floating_traitsIS7_E6data_tEPKSE_: ; @_ZN9rocsparseL16kernel_calculateILi1024ELi1ELb0EfiiEEvT4_T3_PKS2_S4_PKS1_PKT2_21rocsparse_index_base_S4_S4_S6_S4_S4_S6_S4_PS7_PNS_15floating_traitsIS7_E6data_tEPKSE_
; %bb.0:
	s_load_b32 s2, s[0:1], 0x0
	v_lshl_or_b32 v0, s15, 10, v0
	s_waitcnt lgkmcnt(0)
	s_delay_alu instid0(VALU_DEP_1)
	v_cmp_gt_i32_e32 vcc_lo, s2, v0
	s_and_saveexec_b32 s2, vcc_lo
	s_cbranch_execz .LBB9_12
; %bb.1:
	s_load_b128 s[4:7], s[0:1], 0x8
	v_ashrrev_i32_e32 v1, 31, v0
	s_delay_alu instid0(VALU_DEP_1) | instskip(SKIP_1) | instid1(VALU_DEP_1)
	v_lshlrev_b64 v[1:2], 2, v[0:1]
	s_waitcnt lgkmcnt(0)
	v_add_co_u32 v3, vcc_lo, s6, v1
	s_delay_alu instid0(VALU_DEP_2)
	v_add_co_ci_u32_e32 v4, vcc_lo, s7, v2, vcc_lo
	v_add_co_u32 v5, vcc_lo, s4, v1
	v_add_co_ci_u32_e32 v6, vcc_lo, s5, v2, vcc_lo
	global_load_b32 v3, v[3:4], off
	global_load_b32 v4, v[5:6], off
	s_waitcnt vmcnt(0)
	v_cmp_lt_i32_e32 vcc_lo, v4, v3
	s_and_b32 exec_lo, exec_lo, vcc_lo
	s_cbranch_execz .LBB9_12
; %bb.2:
	s_load_b256 s[4:11], s[0:1], 0x30
	s_mov_b32 s3, 0
	s_waitcnt lgkmcnt(0)
	v_add_co_u32 v5, vcc_lo, s6, v1
	v_add_co_ci_u32_e32 v6, vcc_lo, s7, v2, vcc_lo
	v_add_co_u32 v1, vcc_lo, s4, v1
	v_add_co_ci_u32_e32 v2, vcc_lo, s5, v2, vcc_lo
	global_load_b32 v5, v[5:6], off
	global_load_b32 v2, v[1:2], off
	s_clause 0x2
	s_load_b32 s2, s[0:1], 0x28
	s_load_b128 s[20:23], s[0:1], 0x18
	s_load_b256 s[12:19], s[0:1], 0x50
	s_waitcnt lgkmcnt(0)
	v_subrev_nc_u32_e32 v12, s2, v3
	v_subrev_nc_u32_e32 v1, s2, v4
	s_waitcnt vmcnt(1)
	v_subrev_nc_u32_e32 v13, s2, v5
	s_waitcnt vmcnt(0)
	v_cmp_lt_i32_e64 s0, v2, v5
	v_subrev_nc_u32_e32 v14, s2, v2
	s_branch .LBB9_4
.LBB9_3:                                ;   in Loop: Header=BB9_4 Depth=1
	s_or_b32 exec_lo, exec_lo, s1
	v_add_nc_u32_e32 v1, 1, v1
	s_delay_alu instid0(VALU_DEP_1) | instskip(SKIP_1) | instid1(SALU_CYCLE_1)
	v_cmp_ge_i32_e32 vcc_lo, v1, v12
	s_or_b32 s3, vcc_lo, s3
	s_and_not1_b32 exec_lo, exec_lo, s3
	s_cbranch_execz .LBB9_12
.LBB9_4:                                ; =>This Loop Header: Depth=1
                                        ;     Child Loop BB9_7 Depth 2
	v_ashrrev_i32_e32 v2, 31, v1
	s_delay_alu instid0(VALU_DEP_1) | instskip(NEXT) | instid1(VALU_DEP_1)
	v_lshlrev_b64 v[2:3], 2, v[1:2]
	v_add_co_u32 v4, vcc_lo, s20, v2
	s_delay_alu instid0(VALU_DEP_2) | instskip(SKIP_3) | instid1(VALU_DEP_1)
	v_add_co_ci_u32_e32 v5, vcc_lo, s21, v3, vcc_lo
	global_load_b32 v4, v[4:5], off
	s_waitcnt vmcnt(0)
	v_subrev_nc_u32_e32 v4, s2, v4
	v_ashrrev_i32_e32 v5, 31, v4
	s_delay_alu instid0(VALU_DEP_1) | instskip(NEXT) | instid1(VALU_DEP_1)
	v_lshlrev_b64 v[5:6], 2, v[4:5]
	v_add_co_u32 v7, vcc_lo, s6, v5
	s_delay_alu instid0(VALU_DEP_2)
	v_add_co_ci_u32_e32 v8, vcc_lo, s7, v6, vcc_lo
	v_add_co_u32 v9, vcc_lo, s12, v5
	v_add_co_ci_u32_e32 v10, vcc_lo, s13, v6, vcc_lo
	global_load_b32 v7, v[7:8], off
	v_add_co_u32 v15, vcc_lo, s10, v5
	v_add_co_ci_u32_e32 v16, vcc_lo, s11, v6, vcc_lo
	v_add_co_u32 v17, vcc_lo, s22, v2
	v_add_co_ci_u32_e32 v18, vcc_lo, s23, v3, vcc_lo
	global_load_b32 v5, v[9:10], off
	global_load_b32 v6, v[15:16], off
	s_waitcnt vmcnt(2)
	v_subrev_nc_u32_e32 v7, s2, v7
	s_delay_alu instid0(VALU_DEP_1) | instskip(NEXT) | instid1(VALU_DEP_1)
	v_ashrrev_i32_e32 v8, 31, v7
	v_lshlrev_b64 v[7:8], 2, v[7:8]
	s_delay_alu instid0(VALU_DEP_1) | instskip(NEXT) | instid1(VALU_DEP_2)
	v_add_co_u32 v7, vcc_lo, s18, v7
	v_add_co_ci_u32_e32 v8, vcc_lo, s19, v8, vcc_lo
	s_waitcnt vmcnt(0)
	v_cmp_lt_i32_e32 vcc_lo, v6, v5
	global_load_b32 v16, v[17:18], off
	global_load_b32 v15, v[7:8], off
	v_mov_b32_e32 v17, 0
	s_and_b32 s1, s0, vcc_lo
	s_delay_alu instid0(SALU_CYCLE_1)
	s_and_saveexec_b32 s4, s1
	s_cbranch_execz .LBB9_10
; %bb.5:                                ;   in Loop: Header=BB9_4 Depth=1
	v_subrev_nc_u32_e32 v18, s2, v5
	v_subrev_nc_u32_e32 v5, s2, v6
	v_mov_b32_e32 v17, 0
	v_mov_b32_e32 v7, v14
	s_mov_b32 s5, 0
	s_branch .LBB9_7
.LBB9_6:                                ;   in Loop: Header=BB9_7 Depth=2
	s_or_b32 exec_lo, exec_lo, s1
	v_cmp_le_i32_e32 vcc_lo, v6, v19
	v_add_co_ci_u32_e32 v7, vcc_lo, 0, v7, vcc_lo
	v_cmp_ge_i32_e32 vcc_lo, v6, v19
	v_add_co_ci_u32_e32 v5, vcc_lo, 0, v5, vcc_lo
	s_delay_alu instid0(VALU_DEP_3) | instskip(NEXT) | instid1(VALU_DEP_2)
	v_cmp_ge_i32_e32 vcc_lo, v7, v13
	v_cmp_ge_i32_e64 s1, v5, v18
	s_delay_alu instid0(VALU_DEP_1) | instskip(NEXT) | instid1(SALU_CYCLE_1)
	s_or_b32 s1, vcc_lo, s1
	s_and_b32 s1, exec_lo, s1
	s_delay_alu instid0(SALU_CYCLE_1) | instskip(NEXT) | instid1(SALU_CYCLE_1)
	s_or_b32 s5, s1, s5
	s_and_not1_b32 exec_lo, exec_lo, s5
	s_cbranch_execz .LBB9_9
.LBB9_7:                                ;   Parent Loop BB9_4 Depth=1
                                        ; =>  This Inner Loop Header: Depth=2
	s_delay_alu instid0(VALU_DEP_1) | instskip(SKIP_2) | instid1(VALU_DEP_2)
	v_ashrrev_i32_e32 v8, 31, v7
	v_ashrrev_i32_e32 v6, 31, v5
	s_mov_b32 s1, exec_lo
	v_lshlrev_b64 v[8:9], 2, v[7:8]
	s_delay_alu instid0(VALU_DEP_2) | instskip(NEXT) | instid1(VALU_DEP_2)
	v_lshlrev_b64 v[10:11], 2, v[5:6]
	v_add_co_u32 v19, vcc_lo, s8, v8
	s_delay_alu instid0(VALU_DEP_3) | instskip(NEXT) | instid1(VALU_DEP_3)
	v_add_co_ci_u32_e32 v20, vcc_lo, s9, v9, vcc_lo
	v_add_co_u32 v21, vcc_lo, s14, v10
	s_delay_alu instid0(VALU_DEP_4)
	v_add_co_ci_u32_e32 v22, vcc_lo, s15, v11, vcc_lo
	global_load_b32 v6, v[19:20], off
	global_load_b32 v19, v[21:22], off
	s_waitcnt vmcnt(0)
	v_cmpx_eq_u32_e64 v6, v19
	s_cbranch_execz .LBB9_6
; %bb.8:                                ;   in Loop: Header=BB9_7 Depth=2
	v_add_co_u32 v10, vcc_lo, s16, v10
	v_add_co_ci_u32_e32 v11, vcc_lo, s17, v11, vcc_lo
	v_add_co_u32 v8, vcc_lo, s18, v8
	v_add_co_ci_u32_e32 v9, vcc_lo, s19, v9, vcc_lo
	global_load_b32 v10, v[10:11], off
	s_waitcnt vmcnt(0)
	v_ashrrev_i32_e32 v11, 31, v10
	s_delay_alu instid0(VALU_DEP_1) | instskip(NEXT) | instid1(VALU_DEP_1)
	v_lshlrev_b64 v[10:11], 2, v[10:11]
	v_add_co_u32 v10, vcc_lo, s18, v10
	s_delay_alu instid0(VALU_DEP_2)
	v_add_co_ci_u32_e32 v11, vcc_lo, s19, v11, vcc_lo
	s_clause 0x1
	global_load_b32 v8, v[8:9], off
	global_load_b32 v9, v[10:11], off
	s_waitcnt vmcnt(0)
	v_fmac_f32_e32 v17, v8, v9
	s_branch .LBB9_6
.LBB9_9:                                ;   in Loop: Header=BB9_4 Depth=1
	s_or_b32 exec_lo, exec_lo, s5
.LBB9_10:                               ;   in Loop: Header=BB9_4 Depth=1
	s_delay_alu instid0(SALU_CYCLE_1) | instskip(SKIP_3) | instid1(VALU_DEP_1)
	s_or_b32 exec_lo, exec_lo, s4
	s_waitcnt vmcnt(1)
	v_sub_f32_e32 v5, v16, v17
	s_waitcnt vmcnt(0)
	v_div_scale_f32 v6, null, v15, v15, v5
	s_delay_alu instid0(VALU_DEP_1) | instskip(SKIP_2) | instid1(VALU_DEP_1)
	v_rcp_f32_e32 v7, v6
	s_waitcnt_depctr 0xfff
	v_fma_f32 v8, -v6, v7, 1.0
	v_fmac_f32_e32 v7, v8, v7
	v_div_scale_f32 v8, vcc_lo, v5, v15, v5
	s_delay_alu instid0(VALU_DEP_1) | instskip(NEXT) | instid1(VALU_DEP_1)
	v_mul_f32_e32 v9, v8, v7
	v_fma_f32 v10, -v6, v9, v8
	s_delay_alu instid0(VALU_DEP_1) | instskip(NEXT) | instid1(VALU_DEP_1)
	v_fmac_f32_e32 v9, v10, v7
	v_fma_f32 v6, -v6, v9, v8
	s_delay_alu instid0(VALU_DEP_1) | instskip(SKIP_1) | instid1(VALU_DEP_2)
	v_div_fmas_f32 v6, v6, v7, v9
	v_cmp_gt_i32_e32 vcc_lo, v0, v4
	v_div_fixup_f32 v6, v6, v15, v5
	s_delay_alu instid0(VALU_DEP_1) | instskip(NEXT) | instid1(VALU_DEP_1)
	v_cndmask_b32_e32 v4, v5, v6, vcc_lo
	v_cmp_class_f32_e64 s4, v4, 0x1f8
	s_delay_alu instid0(VALU_DEP_1)
	s_and_saveexec_b32 s1, s4
	s_cbranch_execz .LBB9_3
; %bb.11:                               ;   in Loop: Header=BB9_4 Depth=1
	v_add_co_u32 v2, vcc_lo, s18, v2
	v_add_co_ci_u32_e32 v3, vcc_lo, s19, v3, vcc_lo
	global_store_b32 v[2:3], v4, off
	s_branch .LBB9_3
.LBB9_12:
	s_nop 0
	s_sendmsg sendmsg(MSG_DEALLOC_VGPRS)
	s_endpgm
	.section	.rodata,"a",@progbits
	.p2align	6, 0x0
	.amdhsa_kernel _ZN9rocsparseL16kernel_calculateILi1024ELi1ELb0EfiiEEvT4_T3_PKS2_S4_PKS1_PKT2_21rocsparse_index_base_S4_S4_S6_S4_S4_S6_S4_PS7_PNS_15floating_traitsIS7_E6data_tEPKSE_
		.amdhsa_group_segment_fixed_size 0
		.amdhsa_private_segment_fixed_size 0
		.amdhsa_kernarg_size 128
		.amdhsa_user_sgpr_count 15
		.amdhsa_user_sgpr_dispatch_ptr 0
		.amdhsa_user_sgpr_queue_ptr 0
		.amdhsa_user_sgpr_kernarg_segment_ptr 1
		.amdhsa_user_sgpr_dispatch_id 0
		.amdhsa_user_sgpr_private_segment_size 0
		.amdhsa_wavefront_size32 1
		.amdhsa_uses_dynamic_stack 0
		.amdhsa_enable_private_segment 0
		.amdhsa_system_sgpr_workgroup_id_x 1
		.amdhsa_system_sgpr_workgroup_id_y 0
		.amdhsa_system_sgpr_workgroup_id_z 0
		.amdhsa_system_sgpr_workgroup_info 0
		.amdhsa_system_vgpr_workitem_id 0
		.amdhsa_next_free_vgpr 23
		.amdhsa_next_free_sgpr 24
		.amdhsa_reserve_vcc 1
		.amdhsa_float_round_mode_32 0
		.amdhsa_float_round_mode_16_64 0
		.amdhsa_float_denorm_mode_32 3
		.amdhsa_float_denorm_mode_16_64 3
		.amdhsa_dx10_clamp 1
		.amdhsa_ieee_mode 1
		.amdhsa_fp16_overflow 0
		.amdhsa_workgroup_processor_mode 1
		.amdhsa_memory_ordered 1
		.amdhsa_forward_progress 0
		.amdhsa_shared_vgpr_count 0
		.amdhsa_exception_fp_ieee_invalid_op 0
		.amdhsa_exception_fp_denorm_src 0
		.amdhsa_exception_fp_ieee_div_zero 0
		.amdhsa_exception_fp_ieee_overflow 0
		.amdhsa_exception_fp_ieee_underflow 0
		.amdhsa_exception_fp_ieee_inexact 0
		.amdhsa_exception_int_div_zero 0
	.end_amdhsa_kernel
	.section	.text._ZN9rocsparseL16kernel_calculateILi1024ELi1ELb0EfiiEEvT4_T3_PKS2_S4_PKS1_PKT2_21rocsparse_index_base_S4_S4_S6_S4_S4_S6_S4_PS7_PNS_15floating_traitsIS7_E6data_tEPKSE_,"axG",@progbits,_ZN9rocsparseL16kernel_calculateILi1024ELi1ELb0EfiiEEvT4_T3_PKS2_S4_PKS1_PKT2_21rocsparse_index_base_S4_S4_S6_S4_S4_S6_S4_PS7_PNS_15floating_traitsIS7_E6data_tEPKSE_,comdat
.Lfunc_end9:
	.size	_ZN9rocsparseL16kernel_calculateILi1024ELi1ELb0EfiiEEvT4_T3_PKS2_S4_PKS1_PKT2_21rocsparse_index_base_S4_S4_S6_S4_S4_S6_S4_PS7_PNS_15floating_traitsIS7_E6data_tEPKSE_, .Lfunc_end9-_ZN9rocsparseL16kernel_calculateILi1024ELi1ELb0EfiiEEvT4_T3_PKS2_S4_PKS1_PKT2_21rocsparse_index_base_S4_S4_S6_S4_S4_S6_S4_PS7_PNS_15floating_traitsIS7_E6data_tEPKSE_
                                        ; -- End function
	.section	.AMDGPU.csdata,"",@progbits
; Kernel info:
; codeLenInByte = 976
; NumSgprs: 26
; NumVgprs: 23
; ScratchSize: 0
; MemoryBound: 0
; FloatMode: 240
; IeeeMode: 1
; LDSByteSize: 0 bytes/workgroup (compile time only)
; SGPRBlocks: 3
; VGPRBlocks: 2
; NumSGPRsForWavesPerEU: 26
; NumVGPRsForWavesPerEU: 23
; Occupancy: 16
; WaveLimiterHint : 1
; COMPUTE_PGM_RSRC2:SCRATCH_EN: 0
; COMPUTE_PGM_RSRC2:USER_SGPR: 15
; COMPUTE_PGM_RSRC2:TRAP_HANDLER: 0
; COMPUTE_PGM_RSRC2:TGID_X_EN: 1
; COMPUTE_PGM_RSRC2:TGID_Y_EN: 0
; COMPUTE_PGM_RSRC2:TGID_Z_EN: 0
; COMPUTE_PGM_RSRC2:TIDIG_COMP_CNT: 0
	.section	.text._ZN9rocsparseL16kernel_calculateILi1024ELi2ELb0EfiiEEvT4_T3_PKS2_S4_PKS1_PKT2_21rocsparse_index_base_S4_S4_S6_S4_S4_S6_S4_PS7_PNS_15floating_traitsIS7_E6data_tEPKSE_,"axG",@progbits,_ZN9rocsparseL16kernel_calculateILi1024ELi2ELb0EfiiEEvT4_T3_PKS2_S4_PKS1_PKT2_21rocsparse_index_base_S4_S4_S6_S4_S4_S6_S4_PS7_PNS_15floating_traitsIS7_E6data_tEPKSE_,comdat
	.globl	_ZN9rocsparseL16kernel_calculateILi1024ELi2ELb0EfiiEEvT4_T3_PKS2_S4_PKS1_PKT2_21rocsparse_index_base_S4_S4_S6_S4_S4_S6_S4_PS7_PNS_15floating_traitsIS7_E6data_tEPKSE_ ; -- Begin function _ZN9rocsparseL16kernel_calculateILi1024ELi2ELb0EfiiEEvT4_T3_PKS2_S4_PKS1_PKT2_21rocsparse_index_base_S4_S4_S6_S4_S4_S6_S4_PS7_PNS_15floating_traitsIS7_E6data_tEPKSE_
	.p2align	8
	.type	_ZN9rocsparseL16kernel_calculateILi1024ELi2ELb0EfiiEEvT4_T3_PKS2_S4_PKS1_PKT2_21rocsparse_index_base_S4_S4_S6_S4_S4_S6_S4_PS7_PNS_15floating_traitsIS7_E6data_tEPKSE_,@function
_ZN9rocsparseL16kernel_calculateILi1024ELi2ELb0EfiiEEvT4_T3_PKS2_S4_PKS1_PKT2_21rocsparse_index_base_S4_S4_S6_S4_S4_S6_S4_PS7_PNS_15floating_traitsIS7_E6data_tEPKSE_: ; @_ZN9rocsparseL16kernel_calculateILi1024ELi2ELb0EfiiEEvT4_T3_PKS2_S4_PKS1_PKT2_21rocsparse_index_base_S4_S4_S6_S4_S4_S6_S4_PS7_PNS_15floating_traitsIS7_E6data_tEPKSE_
; %bb.0:
	s_load_b32 s3, s[0:1], 0x0
	v_lshrrev_b32_e32 v1, 1, v0
	s_mov_b32 s2, exec_lo
	s_delay_alu instid0(VALU_DEP_1) | instskip(SKIP_1) | instid1(VALU_DEP_1)
	v_lshl_or_b32 v1, s15, 10, v1
	s_waitcnt lgkmcnt(0)
	v_cmpx_gt_i32_e64 s3, v1
	s_cbranch_execz .LBB10_24
; %bb.1:
	s_load_b256 s[4:11], s[0:1], 0x8
	v_ashrrev_i32_e32 v2, 31, v1
	v_and_b32_e32 v0, 1, v0
	s_delay_alu instid0(VALU_DEP_2) | instskip(SKIP_1) | instid1(VALU_DEP_1)
	v_lshlrev_b64 v[2:3], 2, v[1:2]
	s_waitcnt lgkmcnt(0)
	v_add_co_u32 v4, vcc_lo, s6, v2
	s_delay_alu instid0(VALU_DEP_2)
	v_add_co_ci_u32_e32 v5, vcc_lo, s7, v3, vcc_lo
	v_add_co_u32 v6, vcc_lo, s4, v2
	v_add_co_ci_u32_e32 v7, vcc_lo, s5, v3, vcc_lo
	s_mov_b32 s4, exec_lo
	global_load_b32 v8, v[4:5], off
	global_load_b32 v9, v[6:7], off
	s_clause 0x2
	s_load_b32 s2, s[0:1], 0x28
	s_load_b256 s[12:19], s[0:1], 0x50
	s_load_b256 s[20:27], s[0:1], 0x30
	s_waitcnt lgkmcnt(0)
	v_subrev_nc_u32_e32 v0, s2, v0
	s_waitcnt vmcnt(1)
	v_subrev_nc_u32_e32 v19, s2, v8
	s_waitcnt vmcnt(0)
	s_delay_alu instid0(VALU_DEP_2) | instskip(NEXT) | instid1(VALU_DEP_1)
	v_add_nc_u32_e32 v8, v0, v9
	v_cmpx_lt_i32_e64 v8, v19
	s_cbranch_execz .LBB10_12
; %bb.2:
	v_add_co_u32 v9, vcc_lo, s22, v2
	v_add_co_ci_u32_e32 v10, vcc_lo, s23, v3, vcc_lo
	v_add_co_u32 v11, vcc_lo, s20, v2
	v_add_co_ci_u32_e32 v12, vcc_lo, s21, v3, vcc_lo
	s_mov_b32 s5, 0
	global_load_b32 v9, v[9:10], off
	global_load_b32 v10, v[11:12], off
	s_waitcnt vmcnt(1)
	v_subrev_nc_u32_e32 v20, s2, v9
	s_waitcnt vmcnt(0)
	v_cmp_lt_i32_e64 s0, v10, v9
	v_subrev_nc_u32_e32 v21, s2, v10
	s_branch .LBB10_4
.LBB10_3:                               ;   in Loop: Header=BB10_4 Depth=1
	s_or_b32 exec_lo, exec_lo, s1
	v_add_nc_u32_e32 v8, 2, v8
	s_delay_alu instid0(VALU_DEP_1) | instskip(SKIP_1) | instid1(SALU_CYCLE_1)
	v_cmp_ge_i32_e32 vcc_lo, v8, v19
	s_or_b32 s5, vcc_lo, s5
	s_and_not1_b32 exec_lo, exec_lo, s5
	s_cbranch_execz .LBB10_12
.LBB10_4:                               ; =>This Loop Header: Depth=1
                                        ;     Child Loop BB10_7 Depth 2
	v_ashrrev_i32_e32 v9, 31, v8
	s_delay_alu instid0(VALU_DEP_1) | instskip(NEXT) | instid1(VALU_DEP_1)
	v_lshlrev_b64 v[9:10], 2, v[8:9]
	v_add_co_u32 v11, vcc_lo, s8, v9
	s_delay_alu instid0(VALU_DEP_2) | instskip(SKIP_3) | instid1(VALU_DEP_1)
	v_add_co_ci_u32_e32 v12, vcc_lo, s9, v10, vcc_lo
	global_load_b32 v11, v[11:12], off
	s_waitcnt vmcnt(0)
	v_subrev_nc_u32_e32 v11, s2, v11
	v_ashrrev_i32_e32 v12, 31, v11
	s_delay_alu instid0(VALU_DEP_1) | instskip(NEXT) | instid1(VALU_DEP_1)
	v_lshlrev_b64 v[12:13], 2, v[11:12]
	v_add_co_u32 v14, vcc_lo, s22, v12
	s_delay_alu instid0(VALU_DEP_2)
	v_add_co_ci_u32_e32 v15, vcc_lo, s23, v13, vcc_lo
	v_add_co_u32 v16, vcc_lo, s12, v12
	v_add_co_ci_u32_e32 v17, vcc_lo, s13, v13, vcc_lo
	global_load_b32 v14, v[14:15], off
	v_add_co_u32 v22, vcc_lo, s26, v12
	v_add_co_ci_u32_e32 v23, vcc_lo, s27, v13, vcc_lo
	v_add_co_u32 v24, vcc_lo, s10, v9
	v_add_co_ci_u32_e32 v25, vcc_lo, s11, v10, vcc_lo
	global_load_b32 v12, v[16:17], off
	global_load_b32 v13, v[22:23], off
	s_waitcnt vmcnt(2)
	v_subrev_nc_u32_e32 v14, s2, v14
	s_delay_alu instid0(VALU_DEP_1) | instskip(NEXT) | instid1(VALU_DEP_1)
	v_ashrrev_i32_e32 v15, 31, v14
	v_lshlrev_b64 v[14:15], 2, v[14:15]
	s_delay_alu instid0(VALU_DEP_1) | instskip(NEXT) | instid1(VALU_DEP_2)
	v_add_co_u32 v14, vcc_lo, s18, v14
	v_add_co_ci_u32_e32 v15, vcc_lo, s19, v15, vcc_lo
	s_waitcnt vmcnt(0)
	v_cmp_lt_i32_e32 vcc_lo, v13, v12
	global_load_b32 v23, v[24:25], off
	global_load_b32 v22, v[14:15], off
	v_mov_b32_e32 v24, 0
	s_and_b32 s1, s0, vcc_lo
	s_delay_alu instid0(SALU_CYCLE_1)
	s_and_saveexec_b32 s6, s1
	s_cbranch_execz .LBB10_10
; %bb.5:                                ;   in Loop: Header=BB10_4 Depth=1
	v_subrev_nc_u32_e32 v25, s2, v12
	v_subrev_nc_u32_e32 v12, s2, v13
	v_mov_b32_e32 v24, 0
	v_mov_b32_e32 v14, v21
	s_mov_b32 s7, 0
	s_branch .LBB10_7
.LBB10_6:                               ;   in Loop: Header=BB10_7 Depth=2
	s_or_b32 exec_lo, exec_lo, s1
	v_cmp_le_i32_e32 vcc_lo, v13, v26
	v_add_co_ci_u32_e32 v14, vcc_lo, 0, v14, vcc_lo
	v_cmp_ge_i32_e32 vcc_lo, v13, v26
	v_add_co_ci_u32_e32 v12, vcc_lo, 0, v12, vcc_lo
	s_delay_alu instid0(VALU_DEP_3) | instskip(NEXT) | instid1(VALU_DEP_2)
	v_cmp_ge_i32_e32 vcc_lo, v14, v20
	v_cmp_ge_i32_e64 s1, v12, v25
	s_delay_alu instid0(VALU_DEP_1) | instskip(NEXT) | instid1(SALU_CYCLE_1)
	s_or_b32 s1, vcc_lo, s1
	s_and_b32 s1, exec_lo, s1
	s_delay_alu instid0(SALU_CYCLE_1) | instskip(NEXT) | instid1(SALU_CYCLE_1)
	s_or_b32 s7, s1, s7
	s_and_not1_b32 exec_lo, exec_lo, s7
	s_cbranch_execz .LBB10_9
.LBB10_7:                               ;   Parent Loop BB10_4 Depth=1
                                        ; =>  This Inner Loop Header: Depth=2
	s_delay_alu instid0(VALU_DEP_1) | instskip(SKIP_2) | instid1(VALU_DEP_2)
	v_ashrrev_i32_e32 v15, 31, v14
	v_ashrrev_i32_e32 v13, 31, v12
	s_mov_b32 s1, exec_lo
	v_lshlrev_b64 v[15:16], 2, v[14:15]
	s_delay_alu instid0(VALU_DEP_2) | instskip(NEXT) | instid1(VALU_DEP_2)
	v_lshlrev_b64 v[17:18], 2, v[12:13]
	v_add_co_u32 v26, vcc_lo, s24, v15
	s_delay_alu instid0(VALU_DEP_3) | instskip(NEXT) | instid1(VALU_DEP_3)
	v_add_co_ci_u32_e32 v27, vcc_lo, s25, v16, vcc_lo
	v_add_co_u32 v28, vcc_lo, s14, v17
	s_delay_alu instid0(VALU_DEP_4)
	v_add_co_ci_u32_e32 v29, vcc_lo, s15, v18, vcc_lo
	global_load_b32 v13, v[26:27], off
	global_load_b32 v26, v[28:29], off
	s_waitcnt vmcnt(0)
	v_cmpx_eq_u32_e64 v13, v26
	s_cbranch_execz .LBB10_6
; %bb.8:                                ;   in Loop: Header=BB10_7 Depth=2
	v_add_co_u32 v17, vcc_lo, s16, v17
	v_add_co_ci_u32_e32 v18, vcc_lo, s17, v18, vcc_lo
	v_add_co_u32 v15, vcc_lo, s18, v15
	v_add_co_ci_u32_e32 v16, vcc_lo, s19, v16, vcc_lo
	global_load_b32 v17, v[17:18], off
	s_waitcnt vmcnt(0)
	v_ashrrev_i32_e32 v18, 31, v17
	s_delay_alu instid0(VALU_DEP_1) | instskip(NEXT) | instid1(VALU_DEP_1)
	v_lshlrev_b64 v[17:18], 2, v[17:18]
	v_add_co_u32 v17, vcc_lo, s18, v17
	s_delay_alu instid0(VALU_DEP_2)
	v_add_co_ci_u32_e32 v18, vcc_lo, s19, v18, vcc_lo
	s_clause 0x1
	global_load_b32 v15, v[15:16], off
	global_load_b32 v16, v[17:18], off
	s_waitcnt vmcnt(0)
	v_fmac_f32_e32 v24, v15, v16
	s_branch .LBB10_6
.LBB10_9:                               ;   in Loop: Header=BB10_4 Depth=1
	s_or_b32 exec_lo, exec_lo, s7
.LBB10_10:                              ;   in Loop: Header=BB10_4 Depth=1
	s_delay_alu instid0(SALU_CYCLE_1) | instskip(SKIP_3) | instid1(VALU_DEP_1)
	s_or_b32 exec_lo, exec_lo, s6
	s_waitcnt vmcnt(1)
	v_sub_f32_e32 v12, v23, v24
	s_waitcnt vmcnt(0)
	v_div_scale_f32 v13, null, v22, v22, v12
	s_delay_alu instid0(VALU_DEP_1) | instskip(SKIP_2) | instid1(VALU_DEP_1)
	v_rcp_f32_e32 v14, v13
	s_waitcnt_depctr 0xfff
	v_fma_f32 v15, -v13, v14, 1.0
	v_fmac_f32_e32 v14, v15, v14
	v_div_scale_f32 v15, vcc_lo, v12, v22, v12
	s_delay_alu instid0(VALU_DEP_1) | instskip(NEXT) | instid1(VALU_DEP_1)
	v_mul_f32_e32 v16, v15, v14
	v_fma_f32 v17, -v13, v16, v15
	s_delay_alu instid0(VALU_DEP_1) | instskip(NEXT) | instid1(VALU_DEP_1)
	v_fmac_f32_e32 v16, v17, v14
	v_fma_f32 v13, -v13, v16, v15
	s_delay_alu instid0(VALU_DEP_1) | instskip(SKIP_1) | instid1(VALU_DEP_2)
	v_div_fmas_f32 v13, v13, v14, v16
	v_cmp_gt_i32_e32 vcc_lo, v1, v11
	v_div_fixup_f32 v13, v13, v22, v12
	s_delay_alu instid0(VALU_DEP_1) | instskip(NEXT) | instid1(VALU_DEP_1)
	v_cndmask_b32_e32 v11, v12, v13, vcc_lo
	v_cmp_class_f32_e64 s6, v11, 0x1f8
	s_delay_alu instid0(VALU_DEP_1)
	s_and_saveexec_b32 s1, s6
	s_cbranch_execz .LBB10_3
; %bb.11:                               ;   in Loop: Header=BB10_4 Depth=1
	v_add_co_u32 v9, vcc_lo, s18, v9
	v_add_co_ci_u32_e32 v10, vcc_lo, s19, v10, vcc_lo
	global_store_b32 v[9:10], v11, off
	s_branch .LBB10_3
.LBB10_12:
	s_or_b32 exec_lo, exec_lo, s4
	v_or_b32_e32 v11, 0x200, v1
	s_delay_alu instid0(VALU_DEP_1)
	v_cmp_gt_i32_e32 vcc_lo, s3, v11
	s_and_b32 exec_lo, exec_lo, vcc_lo
	s_cbranch_execz .LBB10_24
; %bb.13:
	global_load_b32 v1, v[4:5], off offset:2048
	global_load_b32 v4, v[6:7], off offset:2048
	s_waitcnt vmcnt(1)
	v_subrev_nc_u32_e32 v12, s2, v1
	s_waitcnt vmcnt(0)
	v_add_nc_u32_e32 v0, v0, v4
	s_delay_alu instid0(VALU_DEP_1)
	v_cmp_lt_i32_e32 vcc_lo, v0, v12
	s_and_b32 exec_lo, exec_lo, vcc_lo
	s_cbranch_execz .LBB10_24
; %bb.14:
	v_add_co_u32 v4, vcc_lo, s22, v2
	v_add_co_ci_u32_e32 v5, vcc_lo, s23, v3, vcc_lo
	v_add_co_u32 v1, vcc_lo, s20, v2
	v_add_co_ci_u32_e32 v2, vcc_lo, s21, v3, vcc_lo
	s_mov_b32 s3, 0
	global_load_b32 v3, v[4:5], off offset:2048
	global_load_b32 v1, v[1:2], off offset:2048
	s_waitcnt vmcnt(1)
	v_subrev_nc_u32_e32 v13, s2, v3
	s_waitcnt vmcnt(0)
	v_cmp_lt_i32_e64 s0, v1, v3
	v_subrev_nc_u32_e32 v14, s2, v1
	s_branch .LBB10_16
.LBB10_15:                              ;   in Loop: Header=BB10_16 Depth=1
	s_or_b32 exec_lo, exec_lo, s1
	v_add_nc_u32_e32 v0, 2, v0
	s_delay_alu instid0(VALU_DEP_1) | instskip(SKIP_1) | instid1(SALU_CYCLE_1)
	v_cmp_ge_i32_e32 vcc_lo, v0, v12
	s_or_b32 s3, vcc_lo, s3
	s_and_not1_b32 exec_lo, exec_lo, s3
	s_cbranch_execz .LBB10_24
.LBB10_16:                              ; =>This Loop Header: Depth=1
                                        ;     Child Loop BB10_19 Depth 2
	v_ashrrev_i32_e32 v1, 31, v0
	s_delay_alu instid0(VALU_DEP_1) | instskip(NEXT) | instid1(VALU_DEP_1)
	v_lshlrev_b64 v[1:2], 2, v[0:1]
	v_add_co_u32 v3, vcc_lo, s8, v1
	s_delay_alu instid0(VALU_DEP_2) | instskip(SKIP_3) | instid1(VALU_DEP_1)
	v_add_co_ci_u32_e32 v4, vcc_lo, s9, v2, vcc_lo
	global_load_b32 v3, v[3:4], off
	s_waitcnt vmcnt(0)
	v_subrev_nc_u32_e32 v3, s2, v3
	v_ashrrev_i32_e32 v4, 31, v3
	s_delay_alu instid0(VALU_DEP_1) | instskip(NEXT) | instid1(VALU_DEP_1)
	v_lshlrev_b64 v[4:5], 2, v[3:4]
	v_add_co_u32 v6, vcc_lo, s22, v4
	s_delay_alu instid0(VALU_DEP_2)
	v_add_co_ci_u32_e32 v7, vcc_lo, s23, v5, vcc_lo
	v_add_co_u32 v8, vcc_lo, s12, v4
	v_add_co_ci_u32_e32 v9, vcc_lo, s13, v5, vcc_lo
	global_load_b32 v6, v[6:7], off
	v_add_co_u32 v15, vcc_lo, s26, v4
	v_add_co_ci_u32_e32 v16, vcc_lo, s27, v5, vcc_lo
	v_add_co_u32 v17, vcc_lo, s10, v1
	v_add_co_ci_u32_e32 v18, vcc_lo, s11, v2, vcc_lo
	global_load_b32 v4, v[8:9], off
	global_load_b32 v5, v[15:16], off
	s_waitcnt vmcnt(2)
	v_subrev_nc_u32_e32 v6, s2, v6
	s_delay_alu instid0(VALU_DEP_1) | instskip(NEXT) | instid1(VALU_DEP_1)
	v_ashrrev_i32_e32 v7, 31, v6
	v_lshlrev_b64 v[6:7], 2, v[6:7]
	s_delay_alu instid0(VALU_DEP_1) | instskip(NEXT) | instid1(VALU_DEP_2)
	v_add_co_u32 v6, vcc_lo, s18, v6
	v_add_co_ci_u32_e32 v7, vcc_lo, s19, v7, vcc_lo
	s_waitcnt vmcnt(0)
	v_cmp_lt_i32_e32 vcc_lo, v5, v4
	global_load_b32 v16, v[17:18], off
	global_load_b32 v15, v[6:7], off
	v_mov_b32_e32 v17, 0
	s_and_b32 s1, s0, vcc_lo
	s_delay_alu instid0(SALU_CYCLE_1)
	s_and_saveexec_b32 s4, s1
	s_cbranch_execz .LBB10_22
; %bb.17:                               ;   in Loop: Header=BB10_16 Depth=1
	v_subrev_nc_u32_e32 v18, s2, v4
	v_subrev_nc_u32_e32 v4, s2, v5
	v_dual_mov_b32 v17, 0 :: v_dual_mov_b32 v6, v14
	s_mov_b32 s5, 0
	s_branch .LBB10_19
.LBB10_18:                              ;   in Loop: Header=BB10_19 Depth=2
	s_or_b32 exec_lo, exec_lo, s1
	v_cmp_le_i32_e32 vcc_lo, v5, v19
	v_add_co_ci_u32_e32 v6, vcc_lo, 0, v6, vcc_lo
	v_cmp_ge_i32_e32 vcc_lo, v5, v19
	v_add_co_ci_u32_e32 v4, vcc_lo, 0, v4, vcc_lo
	s_delay_alu instid0(VALU_DEP_3) | instskip(NEXT) | instid1(VALU_DEP_2)
	v_cmp_ge_i32_e32 vcc_lo, v6, v13
	v_cmp_ge_i32_e64 s1, v4, v18
	s_delay_alu instid0(VALU_DEP_1) | instskip(NEXT) | instid1(SALU_CYCLE_1)
	s_or_b32 s1, vcc_lo, s1
	s_and_b32 s1, exec_lo, s1
	s_delay_alu instid0(SALU_CYCLE_1) | instskip(NEXT) | instid1(SALU_CYCLE_1)
	s_or_b32 s5, s1, s5
	s_and_not1_b32 exec_lo, exec_lo, s5
	s_cbranch_execz .LBB10_21
.LBB10_19:                              ;   Parent Loop BB10_16 Depth=1
                                        ; =>  This Inner Loop Header: Depth=2
	s_delay_alu instid0(VALU_DEP_1) | instskip(SKIP_2) | instid1(VALU_DEP_2)
	v_ashrrev_i32_e32 v7, 31, v6
	v_ashrrev_i32_e32 v5, 31, v4
	s_mov_b32 s1, exec_lo
	v_lshlrev_b64 v[7:8], 2, v[6:7]
	s_delay_alu instid0(VALU_DEP_2) | instskip(NEXT) | instid1(VALU_DEP_2)
	v_lshlrev_b64 v[9:10], 2, v[4:5]
	v_add_co_u32 v19, vcc_lo, s24, v7
	s_delay_alu instid0(VALU_DEP_3) | instskip(NEXT) | instid1(VALU_DEP_3)
	v_add_co_ci_u32_e32 v20, vcc_lo, s25, v8, vcc_lo
	v_add_co_u32 v21, vcc_lo, s14, v9
	s_delay_alu instid0(VALU_DEP_4)
	v_add_co_ci_u32_e32 v22, vcc_lo, s15, v10, vcc_lo
	global_load_b32 v5, v[19:20], off
	global_load_b32 v19, v[21:22], off
	s_waitcnt vmcnt(0)
	v_cmpx_eq_u32_e64 v5, v19
	s_cbranch_execz .LBB10_18
; %bb.20:                               ;   in Loop: Header=BB10_19 Depth=2
	v_add_co_u32 v9, vcc_lo, s16, v9
	v_add_co_ci_u32_e32 v10, vcc_lo, s17, v10, vcc_lo
	v_add_co_u32 v7, vcc_lo, s18, v7
	v_add_co_ci_u32_e32 v8, vcc_lo, s19, v8, vcc_lo
	global_load_b32 v9, v[9:10], off
	s_waitcnt vmcnt(0)
	v_ashrrev_i32_e32 v10, 31, v9
	s_delay_alu instid0(VALU_DEP_1) | instskip(NEXT) | instid1(VALU_DEP_1)
	v_lshlrev_b64 v[9:10], 2, v[9:10]
	v_add_co_u32 v9, vcc_lo, s18, v9
	s_delay_alu instid0(VALU_DEP_2)
	v_add_co_ci_u32_e32 v10, vcc_lo, s19, v10, vcc_lo
	s_clause 0x1
	global_load_b32 v7, v[7:8], off
	global_load_b32 v8, v[9:10], off
	s_waitcnt vmcnt(0)
	v_fmac_f32_e32 v17, v7, v8
	s_branch .LBB10_18
.LBB10_21:                              ;   in Loop: Header=BB10_16 Depth=1
	s_or_b32 exec_lo, exec_lo, s5
.LBB10_22:                              ;   in Loop: Header=BB10_16 Depth=1
	s_delay_alu instid0(SALU_CYCLE_1) | instskip(SKIP_3) | instid1(VALU_DEP_1)
	s_or_b32 exec_lo, exec_lo, s4
	s_waitcnt vmcnt(1)
	v_sub_f32_e32 v4, v16, v17
	s_waitcnt vmcnt(0)
	v_div_scale_f32 v5, null, v15, v15, v4
	s_delay_alu instid0(VALU_DEP_1) | instskip(SKIP_2) | instid1(VALU_DEP_1)
	v_rcp_f32_e32 v6, v5
	s_waitcnt_depctr 0xfff
	v_fma_f32 v7, -v5, v6, 1.0
	v_fmac_f32_e32 v6, v7, v6
	v_div_scale_f32 v7, vcc_lo, v4, v15, v4
	s_delay_alu instid0(VALU_DEP_1) | instskip(NEXT) | instid1(VALU_DEP_1)
	v_mul_f32_e32 v8, v7, v6
	v_fma_f32 v9, -v5, v8, v7
	s_delay_alu instid0(VALU_DEP_1) | instskip(NEXT) | instid1(VALU_DEP_1)
	v_fmac_f32_e32 v8, v9, v6
	v_fma_f32 v5, -v5, v8, v7
	s_delay_alu instid0(VALU_DEP_1) | instskip(SKIP_1) | instid1(VALU_DEP_2)
	v_div_fmas_f32 v5, v5, v6, v8
	v_cmp_gt_i32_e32 vcc_lo, v11, v3
	v_div_fixup_f32 v5, v5, v15, v4
	s_delay_alu instid0(VALU_DEP_1) | instskip(NEXT) | instid1(VALU_DEP_1)
	v_cndmask_b32_e32 v3, v4, v5, vcc_lo
	v_cmp_class_f32_e64 s4, v3, 0x1f8
	s_delay_alu instid0(VALU_DEP_1)
	s_and_saveexec_b32 s1, s4
	s_cbranch_execz .LBB10_15
; %bb.23:                               ;   in Loop: Header=BB10_16 Depth=1
	v_add_co_u32 v1, vcc_lo, s18, v1
	v_add_co_ci_u32_e32 v2, vcc_lo, s19, v2, vcc_lo
	global_store_b32 v[1:2], v3, off
	s_branch .LBB10_15
.LBB10_24:
	s_nop 0
	s_sendmsg sendmsg(MSG_DEALLOC_VGPRS)
	s_endpgm
	.section	.rodata,"a",@progbits
	.p2align	6, 0x0
	.amdhsa_kernel _ZN9rocsparseL16kernel_calculateILi1024ELi2ELb0EfiiEEvT4_T3_PKS2_S4_PKS1_PKT2_21rocsparse_index_base_S4_S4_S6_S4_S4_S6_S4_PS7_PNS_15floating_traitsIS7_E6data_tEPKSE_
		.amdhsa_group_segment_fixed_size 0
		.amdhsa_private_segment_fixed_size 0
		.amdhsa_kernarg_size 128
		.amdhsa_user_sgpr_count 15
		.amdhsa_user_sgpr_dispatch_ptr 0
		.amdhsa_user_sgpr_queue_ptr 0
		.amdhsa_user_sgpr_kernarg_segment_ptr 1
		.amdhsa_user_sgpr_dispatch_id 0
		.amdhsa_user_sgpr_private_segment_size 0
		.amdhsa_wavefront_size32 1
		.amdhsa_uses_dynamic_stack 0
		.amdhsa_enable_private_segment 0
		.amdhsa_system_sgpr_workgroup_id_x 1
		.amdhsa_system_sgpr_workgroup_id_y 0
		.amdhsa_system_sgpr_workgroup_id_z 0
		.amdhsa_system_sgpr_workgroup_info 0
		.amdhsa_system_vgpr_workitem_id 0
		.amdhsa_next_free_vgpr 30
		.amdhsa_next_free_sgpr 28
		.amdhsa_reserve_vcc 1
		.amdhsa_float_round_mode_32 0
		.amdhsa_float_round_mode_16_64 0
		.amdhsa_float_denorm_mode_32 3
		.amdhsa_float_denorm_mode_16_64 3
		.amdhsa_dx10_clamp 1
		.amdhsa_ieee_mode 1
		.amdhsa_fp16_overflow 0
		.amdhsa_workgroup_processor_mode 1
		.amdhsa_memory_ordered 1
		.amdhsa_forward_progress 0
		.amdhsa_shared_vgpr_count 0
		.amdhsa_exception_fp_ieee_invalid_op 0
		.amdhsa_exception_fp_denorm_src 0
		.amdhsa_exception_fp_ieee_div_zero 0
		.amdhsa_exception_fp_ieee_overflow 0
		.amdhsa_exception_fp_ieee_underflow 0
		.amdhsa_exception_fp_ieee_inexact 0
		.amdhsa_exception_int_div_zero 0
	.end_amdhsa_kernel
	.section	.text._ZN9rocsparseL16kernel_calculateILi1024ELi2ELb0EfiiEEvT4_T3_PKS2_S4_PKS1_PKT2_21rocsparse_index_base_S4_S4_S6_S4_S4_S6_S4_PS7_PNS_15floating_traitsIS7_E6data_tEPKSE_,"axG",@progbits,_ZN9rocsparseL16kernel_calculateILi1024ELi2ELb0EfiiEEvT4_T3_PKS2_S4_PKS1_PKT2_21rocsparse_index_base_S4_S4_S6_S4_S4_S6_S4_PS7_PNS_15floating_traitsIS7_E6data_tEPKSE_,comdat
.Lfunc_end10:
	.size	_ZN9rocsparseL16kernel_calculateILi1024ELi2ELb0EfiiEEvT4_T3_PKS2_S4_PKS1_PKT2_21rocsparse_index_base_S4_S4_S6_S4_S4_S6_S4_PS7_PNS_15floating_traitsIS7_E6data_tEPKSE_, .Lfunc_end10-_ZN9rocsparseL16kernel_calculateILi1024ELi2ELb0EfiiEEvT4_T3_PKS2_S4_PKS1_PKT2_21rocsparse_index_base_S4_S4_S6_S4_S4_S6_S4_PS7_PNS_15floating_traitsIS7_E6data_tEPKSE_
                                        ; -- End function
	.section	.AMDGPU.csdata,"",@progbits
; Kernel info:
; codeLenInByte = 1856
; NumSgprs: 30
; NumVgprs: 30
; ScratchSize: 0
; MemoryBound: 0
; FloatMode: 240
; IeeeMode: 1
; LDSByteSize: 0 bytes/workgroup (compile time only)
; SGPRBlocks: 3
; VGPRBlocks: 3
; NumSGPRsForWavesPerEU: 30
; NumVGPRsForWavesPerEU: 30
; Occupancy: 16
; WaveLimiterHint : 1
; COMPUTE_PGM_RSRC2:SCRATCH_EN: 0
; COMPUTE_PGM_RSRC2:USER_SGPR: 15
; COMPUTE_PGM_RSRC2:TRAP_HANDLER: 0
; COMPUTE_PGM_RSRC2:TGID_X_EN: 1
; COMPUTE_PGM_RSRC2:TGID_Y_EN: 0
; COMPUTE_PGM_RSRC2:TGID_Z_EN: 0
; COMPUTE_PGM_RSRC2:TIDIG_COMP_CNT: 0
	.section	.text._ZN9rocsparseL16kernel_calculateILi1024ELi4ELb0EfiiEEvT4_T3_PKS2_S4_PKS1_PKT2_21rocsparse_index_base_S4_S4_S6_S4_S4_S6_S4_PS7_PNS_15floating_traitsIS7_E6data_tEPKSE_,"axG",@progbits,_ZN9rocsparseL16kernel_calculateILi1024ELi4ELb0EfiiEEvT4_T3_PKS2_S4_PKS1_PKT2_21rocsparse_index_base_S4_S4_S6_S4_S4_S6_S4_PS7_PNS_15floating_traitsIS7_E6data_tEPKSE_,comdat
	.globl	_ZN9rocsparseL16kernel_calculateILi1024ELi4ELb0EfiiEEvT4_T3_PKS2_S4_PKS1_PKT2_21rocsparse_index_base_S4_S4_S6_S4_S4_S6_S4_PS7_PNS_15floating_traitsIS7_E6data_tEPKSE_ ; -- Begin function _ZN9rocsparseL16kernel_calculateILi1024ELi4ELb0EfiiEEvT4_T3_PKS2_S4_PKS1_PKT2_21rocsparse_index_base_S4_S4_S6_S4_S4_S6_S4_PS7_PNS_15floating_traitsIS7_E6data_tEPKSE_
	.p2align	8
	.type	_ZN9rocsparseL16kernel_calculateILi1024ELi4ELb0EfiiEEvT4_T3_PKS2_S4_PKS1_PKT2_21rocsparse_index_base_S4_S4_S6_S4_S4_S6_S4_PS7_PNS_15floating_traitsIS7_E6data_tEPKSE_,@function
_ZN9rocsparseL16kernel_calculateILi1024ELi4ELb0EfiiEEvT4_T3_PKS2_S4_PKS1_PKT2_21rocsparse_index_base_S4_S4_S6_S4_S4_S6_S4_PS7_PNS_15floating_traitsIS7_E6data_tEPKSE_: ; @_ZN9rocsparseL16kernel_calculateILi1024ELi4ELb0EfiiEEvT4_T3_PKS2_S4_PKS1_PKT2_21rocsparse_index_base_S4_S4_S6_S4_S4_S6_S4_PS7_PNS_15floating_traitsIS7_E6data_tEPKSE_
; %bb.0:
	s_load_b32 s2, s[0:1], 0x0
	v_lshrrev_b32_e32 v1, 2, v0
	s_mov_b32 s3, exec_lo
	s_delay_alu instid0(VALU_DEP_1) | instskip(SKIP_1) | instid1(VALU_DEP_1)
	v_lshl_or_b32 v12, s15, 10, v1
	s_waitcnt lgkmcnt(0)
	v_cmpx_gt_i32_e64 s2, v12
	s_cbranch_execz .LBB11_15
; %bb.1:
	s_clause 0x3
	s_load_b32 s3, s[0:1], 0x28
	s_load_b256 s[4:11], s[0:1], 0x50
	s_load_b256 s[12:19], s[0:1], 0x30
	;; [unrolled: 1-line block ×3, first 2 shown]
	v_and_b32_e32 v0, 3, v0
	s_mov_b32 s28, 0
	s_waitcnt lgkmcnt(0)
	s_delay_alu instid0(VALU_DEP_1)
	v_subrev_nc_u32_e32 v13, s3, v0
	s_branch .LBB11_3
.LBB11_2:                               ;   in Loop: Header=BB11_3 Depth=1
	s_or_b32 exec_lo, exec_lo, s29
	s_add_i32 s28, s28, 1
	s_delay_alu instid0(SALU_CYCLE_1)
	s_cmp_lg_u32 s28, 4
	s_cbranch_scc0 .LBB11_15
.LBB11_3:                               ; =>This Loop Header: Depth=1
                                        ;     Child Loop BB11_7 Depth 2
                                        ;       Child Loop BB11_10 Depth 3
	v_lshl_add_u32 v0, s28, 8, v12
	s_mov_b32 s29, exec_lo
	s_delay_alu instid0(VALU_DEP_1)
	v_cmpx_gt_i32_e64 s2, v0
	s_cbranch_execz .LBB11_2
; %bb.4:                                ;   in Loop: Header=BB11_3 Depth=1
	v_ashrrev_i32_e32 v1, 31, v0
	s_delay_alu instid0(VALU_DEP_1) | instskip(NEXT) | instid1(VALU_DEP_1)
	v_lshlrev_b64 v[2:3], 2, v[0:1]
	v_add_co_u32 v4, vcc_lo, s22, v2
	s_delay_alu instid0(VALU_DEP_2)
	v_add_co_ci_u32_e32 v5, vcc_lo, s23, v3, vcc_lo
	v_add_co_u32 v6, vcc_lo, s20, v2
	v_add_co_ci_u32_e32 v7, vcc_lo, s21, v3, vcc_lo
	global_load_b32 v1, v[4:5], off
	global_load_b32 v4, v[6:7], off
	s_waitcnt vmcnt(1)
	v_subrev_nc_u32_e32 v14, s3, v1
	s_waitcnt vmcnt(0)
	v_add_nc_u32_e32 v1, v13, v4
	s_delay_alu instid0(VALU_DEP_1)
	v_cmp_lt_i32_e32 vcc_lo, v1, v14
	s_and_b32 exec_lo, exec_lo, vcc_lo
	s_cbranch_execz .LBB11_2
; %bb.5:                                ;   in Loop: Header=BB11_3 Depth=1
	v_add_co_u32 v4, vcc_lo, s14, v2
	v_add_co_ci_u32_e32 v5, vcc_lo, s15, v3, vcc_lo
	v_add_co_u32 v2, vcc_lo, s12, v2
	v_add_co_ci_u32_e32 v3, vcc_lo, s13, v3, vcc_lo
	s_mov_b32 s30, 0
	global_load_b32 v4, v[4:5], off
	global_load_b32 v2, v[2:3], off
	s_waitcnt vmcnt(1)
	v_subrev_nc_u32_e32 v15, s3, v4
	s_waitcnt vmcnt(0)
	v_cmp_lt_i32_e64 s0, v2, v4
	v_subrev_nc_u32_e32 v16, s3, v2
	s_branch .LBB11_7
.LBB11_6:                               ;   in Loop: Header=BB11_7 Depth=2
	s_or_b32 exec_lo, exec_lo, s1
	v_add_nc_u32_e32 v1, 4, v1
	s_delay_alu instid0(VALU_DEP_1) | instskip(SKIP_1) | instid1(SALU_CYCLE_1)
	v_cmp_ge_i32_e32 vcc_lo, v1, v14
	s_or_b32 s30, vcc_lo, s30
	s_and_not1_b32 exec_lo, exec_lo, s30
	s_cbranch_execz .LBB11_2
.LBB11_7:                               ;   Parent Loop BB11_3 Depth=1
                                        ; =>  This Loop Header: Depth=2
                                        ;       Child Loop BB11_10 Depth 3
	v_ashrrev_i32_e32 v2, 31, v1
	s_delay_alu instid0(VALU_DEP_1) | instskip(NEXT) | instid1(VALU_DEP_1)
	v_lshlrev_b64 v[2:3], 2, v[1:2]
	v_add_co_u32 v4, vcc_lo, s24, v2
	s_delay_alu instid0(VALU_DEP_2) | instskip(SKIP_3) | instid1(VALU_DEP_1)
	v_add_co_ci_u32_e32 v5, vcc_lo, s25, v3, vcc_lo
	global_load_b32 v4, v[4:5], off
	s_waitcnt vmcnt(0)
	v_subrev_nc_u32_e32 v4, s3, v4
	v_ashrrev_i32_e32 v5, 31, v4
	s_delay_alu instid0(VALU_DEP_1) | instskip(NEXT) | instid1(VALU_DEP_1)
	v_lshlrev_b64 v[5:6], 2, v[4:5]
	v_add_co_u32 v7, vcc_lo, s14, v5
	s_delay_alu instid0(VALU_DEP_2)
	v_add_co_ci_u32_e32 v8, vcc_lo, s15, v6, vcc_lo
	v_add_co_u32 v9, vcc_lo, s4, v5
	v_add_co_ci_u32_e32 v10, vcc_lo, s5, v6, vcc_lo
	global_load_b32 v7, v[7:8], off
	v_add_co_u32 v17, vcc_lo, s18, v5
	v_add_co_ci_u32_e32 v18, vcc_lo, s19, v6, vcc_lo
	v_add_co_u32 v19, vcc_lo, s26, v2
	v_add_co_ci_u32_e32 v20, vcc_lo, s27, v3, vcc_lo
	global_load_b32 v5, v[9:10], off
	global_load_b32 v6, v[17:18], off
	s_waitcnt vmcnt(2)
	v_subrev_nc_u32_e32 v7, s3, v7
	s_delay_alu instid0(VALU_DEP_1) | instskip(NEXT) | instid1(VALU_DEP_1)
	v_ashrrev_i32_e32 v8, 31, v7
	v_lshlrev_b64 v[7:8], 2, v[7:8]
	s_delay_alu instid0(VALU_DEP_1) | instskip(NEXT) | instid1(VALU_DEP_2)
	v_add_co_u32 v7, vcc_lo, s10, v7
	v_add_co_ci_u32_e32 v8, vcc_lo, s11, v8, vcc_lo
	s_waitcnt vmcnt(0)
	v_cmp_lt_i32_e32 vcc_lo, v6, v5
	global_load_b32 v18, v[19:20], off
	global_load_b32 v17, v[7:8], off
	v_mov_b32_e32 v19, 0
	s_and_b32 s1, s0, vcc_lo
	s_delay_alu instid0(SALU_CYCLE_1)
	s_and_saveexec_b32 s31, s1
	s_cbranch_execz .LBB11_13
; %bb.8:                                ;   in Loop: Header=BB11_7 Depth=2
	v_subrev_nc_u32_e32 v20, s3, v5
	v_subrev_nc_u32_e32 v5, s3, v6
	v_mov_b32_e32 v19, 0
	v_mov_b32_e32 v7, v16
	s_mov_b32 s33, 0
	s_branch .LBB11_10
.LBB11_9:                               ;   in Loop: Header=BB11_10 Depth=3
	s_or_b32 exec_lo, exec_lo, s1
	v_cmp_le_i32_e32 vcc_lo, v6, v21
	v_add_co_ci_u32_e32 v7, vcc_lo, 0, v7, vcc_lo
	v_cmp_ge_i32_e32 vcc_lo, v6, v21
	v_add_co_ci_u32_e32 v5, vcc_lo, 0, v5, vcc_lo
	s_delay_alu instid0(VALU_DEP_3) | instskip(NEXT) | instid1(VALU_DEP_2)
	v_cmp_ge_i32_e32 vcc_lo, v7, v15
	v_cmp_ge_i32_e64 s1, v5, v20
	s_delay_alu instid0(VALU_DEP_1) | instskip(NEXT) | instid1(SALU_CYCLE_1)
	s_or_b32 s1, vcc_lo, s1
	s_and_b32 s1, exec_lo, s1
	s_delay_alu instid0(SALU_CYCLE_1) | instskip(NEXT) | instid1(SALU_CYCLE_1)
	s_or_b32 s33, s1, s33
	s_and_not1_b32 exec_lo, exec_lo, s33
	s_cbranch_execz .LBB11_12
.LBB11_10:                              ;   Parent Loop BB11_3 Depth=1
                                        ;     Parent Loop BB11_7 Depth=2
                                        ; =>    This Inner Loop Header: Depth=3
	s_delay_alu instid0(VALU_DEP_1) | instskip(SKIP_2) | instid1(VALU_DEP_2)
	v_ashrrev_i32_e32 v8, 31, v7
	v_ashrrev_i32_e32 v6, 31, v5
	s_mov_b32 s1, exec_lo
	v_lshlrev_b64 v[8:9], 2, v[7:8]
	s_delay_alu instid0(VALU_DEP_2) | instskip(NEXT) | instid1(VALU_DEP_2)
	v_lshlrev_b64 v[10:11], 2, v[5:6]
	v_add_co_u32 v21, vcc_lo, s16, v8
	s_delay_alu instid0(VALU_DEP_3) | instskip(NEXT) | instid1(VALU_DEP_3)
	v_add_co_ci_u32_e32 v22, vcc_lo, s17, v9, vcc_lo
	v_add_co_u32 v23, vcc_lo, s6, v10
	s_delay_alu instid0(VALU_DEP_4)
	v_add_co_ci_u32_e32 v24, vcc_lo, s7, v11, vcc_lo
	global_load_b32 v6, v[21:22], off
	global_load_b32 v21, v[23:24], off
	s_waitcnt vmcnt(0)
	v_cmpx_eq_u32_e64 v6, v21
	s_cbranch_execz .LBB11_9
; %bb.11:                               ;   in Loop: Header=BB11_10 Depth=3
	v_add_co_u32 v10, vcc_lo, s8, v10
	v_add_co_ci_u32_e32 v11, vcc_lo, s9, v11, vcc_lo
	v_add_co_u32 v8, vcc_lo, s10, v8
	v_add_co_ci_u32_e32 v9, vcc_lo, s11, v9, vcc_lo
	global_load_b32 v10, v[10:11], off
	s_waitcnt vmcnt(0)
	v_ashrrev_i32_e32 v11, 31, v10
	s_delay_alu instid0(VALU_DEP_1) | instskip(NEXT) | instid1(VALU_DEP_1)
	v_lshlrev_b64 v[10:11], 2, v[10:11]
	v_add_co_u32 v10, vcc_lo, s10, v10
	s_delay_alu instid0(VALU_DEP_2)
	v_add_co_ci_u32_e32 v11, vcc_lo, s11, v11, vcc_lo
	s_clause 0x1
	global_load_b32 v8, v[8:9], off
	global_load_b32 v9, v[10:11], off
	s_waitcnt vmcnt(0)
	v_fmac_f32_e32 v19, v8, v9
	s_branch .LBB11_9
.LBB11_12:                              ;   in Loop: Header=BB11_7 Depth=2
	s_or_b32 exec_lo, exec_lo, s33
.LBB11_13:                              ;   in Loop: Header=BB11_7 Depth=2
	s_delay_alu instid0(SALU_CYCLE_1) | instskip(SKIP_3) | instid1(VALU_DEP_1)
	s_or_b32 exec_lo, exec_lo, s31
	s_waitcnt vmcnt(1)
	v_sub_f32_e32 v5, v18, v19
	s_waitcnt vmcnt(0)
	v_div_scale_f32 v6, null, v17, v17, v5
	s_delay_alu instid0(VALU_DEP_1) | instskip(SKIP_2) | instid1(VALU_DEP_1)
	v_rcp_f32_e32 v7, v6
	s_waitcnt_depctr 0xfff
	v_fma_f32 v8, -v6, v7, 1.0
	v_fmac_f32_e32 v7, v8, v7
	v_div_scale_f32 v8, vcc_lo, v5, v17, v5
	s_delay_alu instid0(VALU_DEP_1) | instskip(NEXT) | instid1(VALU_DEP_1)
	v_mul_f32_e32 v9, v8, v7
	v_fma_f32 v10, -v6, v9, v8
	s_delay_alu instid0(VALU_DEP_1) | instskip(NEXT) | instid1(VALU_DEP_1)
	v_fmac_f32_e32 v9, v10, v7
	v_fma_f32 v6, -v6, v9, v8
	s_delay_alu instid0(VALU_DEP_1) | instskip(SKIP_1) | instid1(VALU_DEP_2)
	v_div_fmas_f32 v6, v6, v7, v9
	v_cmp_gt_i32_e32 vcc_lo, v0, v4
	v_div_fixup_f32 v6, v6, v17, v5
	s_delay_alu instid0(VALU_DEP_1) | instskip(NEXT) | instid1(VALU_DEP_1)
	v_cndmask_b32_e32 v4, v5, v6, vcc_lo
	v_cmp_class_f32_e64 s31, v4, 0x1f8
	s_delay_alu instid0(VALU_DEP_1)
	s_and_saveexec_b32 s1, s31
	s_cbranch_execz .LBB11_6
; %bb.14:                               ;   in Loop: Header=BB11_7 Depth=2
	v_add_co_u32 v2, vcc_lo, s10, v2
	v_add_co_ci_u32_e32 v3, vcc_lo, s11, v3, vcc_lo
	global_store_b32 v[2:3], v4, off
	s_branch .LBB11_6
.LBB11_15:
	s_nop 0
	s_sendmsg sendmsg(MSG_DEALLOC_VGPRS)
	s_endpgm
	.section	.rodata,"a",@progbits
	.p2align	6, 0x0
	.amdhsa_kernel _ZN9rocsparseL16kernel_calculateILi1024ELi4ELb0EfiiEEvT4_T3_PKS2_S4_PKS1_PKT2_21rocsparse_index_base_S4_S4_S6_S4_S4_S6_S4_PS7_PNS_15floating_traitsIS7_E6data_tEPKSE_
		.amdhsa_group_segment_fixed_size 0
		.amdhsa_private_segment_fixed_size 0
		.amdhsa_kernarg_size 128
		.amdhsa_user_sgpr_count 15
		.amdhsa_user_sgpr_dispatch_ptr 0
		.amdhsa_user_sgpr_queue_ptr 0
		.amdhsa_user_sgpr_kernarg_segment_ptr 1
		.amdhsa_user_sgpr_dispatch_id 0
		.amdhsa_user_sgpr_private_segment_size 0
		.amdhsa_wavefront_size32 1
		.amdhsa_uses_dynamic_stack 0
		.amdhsa_enable_private_segment 0
		.amdhsa_system_sgpr_workgroup_id_x 1
		.amdhsa_system_sgpr_workgroup_id_y 0
		.amdhsa_system_sgpr_workgroup_id_z 0
		.amdhsa_system_sgpr_workgroup_info 0
		.amdhsa_system_vgpr_workitem_id 0
		.amdhsa_next_free_vgpr 25
		.amdhsa_next_free_sgpr 34
		.amdhsa_reserve_vcc 1
		.amdhsa_float_round_mode_32 0
		.amdhsa_float_round_mode_16_64 0
		.amdhsa_float_denorm_mode_32 3
		.amdhsa_float_denorm_mode_16_64 3
		.amdhsa_dx10_clamp 1
		.amdhsa_ieee_mode 1
		.amdhsa_fp16_overflow 0
		.amdhsa_workgroup_processor_mode 1
		.amdhsa_memory_ordered 1
		.amdhsa_forward_progress 0
		.amdhsa_shared_vgpr_count 0
		.amdhsa_exception_fp_ieee_invalid_op 0
		.amdhsa_exception_fp_denorm_src 0
		.amdhsa_exception_fp_ieee_div_zero 0
		.amdhsa_exception_fp_ieee_overflow 0
		.amdhsa_exception_fp_ieee_underflow 0
		.amdhsa_exception_fp_ieee_inexact 0
		.amdhsa_exception_int_div_zero 0
	.end_amdhsa_kernel
	.section	.text._ZN9rocsparseL16kernel_calculateILi1024ELi4ELb0EfiiEEvT4_T3_PKS2_S4_PKS1_PKT2_21rocsparse_index_base_S4_S4_S6_S4_S4_S6_S4_PS7_PNS_15floating_traitsIS7_E6data_tEPKSE_,"axG",@progbits,_ZN9rocsparseL16kernel_calculateILi1024ELi4ELb0EfiiEEvT4_T3_PKS2_S4_PKS1_PKT2_21rocsparse_index_base_S4_S4_S6_S4_S4_S6_S4_PS7_PNS_15floating_traitsIS7_E6data_tEPKSE_,comdat
.Lfunc_end11:
	.size	_ZN9rocsparseL16kernel_calculateILi1024ELi4ELb0EfiiEEvT4_T3_PKS2_S4_PKS1_PKT2_21rocsparse_index_base_S4_S4_S6_S4_S4_S6_S4_PS7_PNS_15floating_traitsIS7_E6data_tEPKSE_, .Lfunc_end11-_ZN9rocsparseL16kernel_calculateILi1024ELi4ELb0EfiiEEvT4_T3_PKS2_S4_PKS1_PKT2_21rocsparse_index_base_S4_S4_S6_S4_S4_S6_S4_PS7_PNS_15floating_traitsIS7_E6data_tEPKSE_
                                        ; -- End function
	.section	.AMDGPU.csdata,"",@progbits
; Kernel info:
; codeLenInByte = 1044
; NumSgprs: 36
; NumVgprs: 25
; ScratchSize: 0
; MemoryBound: 0
; FloatMode: 240
; IeeeMode: 1
; LDSByteSize: 0 bytes/workgroup (compile time only)
; SGPRBlocks: 4
; VGPRBlocks: 3
; NumSGPRsForWavesPerEU: 36
; NumVGPRsForWavesPerEU: 25
; Occupancy: 16
; WaveLimiterHint : 1
; COMPUTE_PGM_RSRC2:SCRATCH_EN: 0
; COMPUTE_PGM_RSRC2:USER_SGPR: 15
; COMPUTE_PGM_RSRC2:TRAP_HANDLER: 0
; COMPUTE_PGM_RSRC2:TGID_X_EN: 1
; COMPUTE_PGM_RSRC2:TGID_Y_EN: 0
; COMPUTE_PGM_RSRC2:TGID_Z_EN: 0
; COMPUTE_PGM_RSRC2:TIDIG_COMP_CNT: 0
	.section	.text._ZN9rocsparseL16kernel_calculateILi1024ELi8ELb0EfiiEEvT4_T3_PKS2_S4_PKS1_PKT2_21rocsparse_index_base_S4_S4_S6_S4_S4_S6_S4_PS7_PNS_15floating_traitsIS7_E6data_tEPKSE_,"axG",@progbits,_ZN9rocsparseL16kernel_calculateILi1024ELi8ELb0EfiiEEvT4_T3_PKS2_S4_PKS1_PKT2_21rocsparse_index_base_S4_S4_S6_S4_S4_S6_S4_PS7_PNS_15floating_traitsIS7_E6data_tEPKSE_,comdat
	.globl	_ZN9rocsparseL16kernel_calculateILi1024ELi8ELb0EfiiEEvT4_T3_PKS2_S4_PKS1_PKT2_21rocsparse_index_base_S4_S4_S6_S4_S4_S6_S4_PS7_PNS_15floating_traitsIS7_E6data_tEPKSE_ ; -- Begin function _ZN9rocsparseL16kernel_calculateILi1024ELi8ELb0EfiiEEvT4_T3_PKS2_S4_PKS1_PKT2_21rocsparse_index_base_S4_S4_S6_S4_S4_S6_S4_PS7_PNS_15floating_traitsIS7_E6data_tEPKSE_
	.p2align	8
	.type	_ZN9rocsparseL16kernel_calculateILi1024ELi8ELb0EfiiEEvT4_T3_PKS2_S4_PKS1_PKT2_21rocsparse_index_base_S4_S4_S6_S4_S4_S6_S4_PS7_PNS_15floating_traitsIS7_E6data_tEPKSE_,@function
_ZN9rocsparseL16kernel_calculateILi1024ELi8ELb0EfiiEEvT4_T3_PKS2_S4_PKS1_PKT2_21rocsparse_index_base_S4_S4_S6_S4_S4_S6_S4_PS7_PNS_15floating_traitsIS7_E6data_tEPKSE_: ; @_ZN9rocsparseL16kernel_calculateILi1024ELi8ELb0EfiiEEvT4_T3_PKS2_S4_PKS1_PKT2_21rocsparse_index_base_S4_S4_S6_S4_S4_S6_S4_PS7_PNS_15floating_traitsIS7_E6data_tEPKSE_
; %bb.0:
	s_load_b32 s2, s[0:1], 0x0
	v_lshrrev_b32_e32 v1, 3, v0
	s_mov_b32 s3, exec_lo
	s_delay_alu instid0(VALU_DEP_1) | instskip(SKIP_1) | instid1(VALU_DEP_1)
	v_lshl_or_b32 v12, s15, 10, v1
	s_waitcnt lgkmcnt(0)
	v_cmpx_gt_i32_e64 s2, v12
	s_cbranch_execz .LBB12_15
; %bb.1:
	s_clause 0x3
	s_load_b32 s3, s[0:1], 0x28
	s_load_b256 s[4:11], s[0:1], 0x50
	s_load_b256 s[12:19], s[0:1], 0x30
	;; [unrolled: 1-line block ×3, first 2 shown]
	v_and_b32_e32 v0, 7, v0
	s_mov_b32 s28, 0
	s_waitcnt lgkmcnt(0)
	s_delay_alu instid0(VALU_DEP_1)
	v_subrev_nc_u32_e32 v13, s3, v0
	s_branch .LBB12_3
.LBB12_2:                               ;   in Loop: Header=BB12_3 Depth=1
	s_or_b32 exec_lo, exec_lo, s29
	s_add_i32 s28, s28, 1
	s_delay_alu instid0(SALU_CYCLE_1)
	s_cmp_lg_u32 s28, 8
	s_cbranch_scc0 .LBB12_15
.LBB12_3:                               ; =>This Loop Header: Depth=1
                                        ;     Child Loop BB12_7 Depth 2
                                        ;       Child Loop BB12_10 Depth 3
	v_lshl_add_u32 v0, s28, 7, v12
	s_mov_b32 s29, exec_lo
	s_delay_alu instid0(VALU_DEP_1)
	v_cmpx_gt_i32_e64 s2, v0
	s_cbranch_execz .LBB12_2
; %bb.4:                                ;   in Loop: Header=BB12_3 Depth=1
	v_ashrrev_i32_e32 v1, 31, v0
	s_delay_alu instid0(VALU_DEP_1) | instskip(NEXT) | instid1(VALU_DEP_1)
	v_lshlrev_b64 v[2:3], 2, v[0:1]
	v_add_co_u32 v4, vcc_lo, s22, v2
	s_delay_alu instid0(VALU_DEP_2)
	v_add_co_ci_u32_e32 v5, vcc_lo, s23, v3, vcc_lo
	v_add_co_u32 v6, vcc_lo, s20, v2
	v_add_co_ci_u32_e32 v7, vcc_lo, s21, v3, vcc_lo
	global_load_b32 v1, v[4:5], off
	global_load_b32 v4, v[6:7], off
	s_waitcnt vmcnt(1)
	v_subrev_nc_u32_e32 v14, s3, v1
	s_waitcnt vmcnt(0)
	v_add_nc_u32_e32 v1, v13, v4
	s_delay_alu instid0(VALU_DEP_1)
	v_cmp_lt_i32_e32 vcc_lo, v1, v14
	s_and_b32 exec_lo, exec_lo, vcc_lo
	s_cbranch_execz .LBB12_2
; %bb.5:                                ;   in Loop: Header=BB12_3 Depth=1
	v_add_co_u32 v4, vcc_lo, s14, v2
	v_add_co_ci_u32_e32 v5, vcc_lo, s15, v3, vcc_lo
	v_add_co_u32 v2, vcc_lo, s12, v2
	v_add_co_ci_u32_e32 v3, vcc_lo, s13, v3, vcc_lo
	s_mov_b32 s30, 0
	global_load_b32 v4, v[4:5], off
	global_load_b32 v2, v[2:3], off
	s_waitcnt vmcnt(1)
	v_subrev_nc_u32_e32 v15, s3, v4
	s_waitcnt vmcnt(0)
	v_cmp_lt_i32_e64 s0, v2, v4
	v_subrev_nc_u32_e32 v16, s3, v2
	s_branch .LBB12_7
.LBB12_6:                               ;   in Loop: Header=BB12_7 Depth=2
	s_or_b32 exec_lo, exec_lo, s1
	v_add_nc_u32_e32 v1, 8, v1
	s_delay_alu instid0(VALU_DEP_1) | instskip(SKIP_1) | instid1(SALU_CYCLE_1)
	v_cmp_ge_i32_e32 vcc_lo, v1, v14
	s_or_b32 s30, vcc_lo, s30
	s_and_not1_b32 exec_lo, exec_lo, s30
	s_cbranch_execz .LBB12_2
.LBB12_7:                               ;   Parent Loop BB12_3 Depth=1
                                        ; =>  This Loop Header: Depth=2
                                        ;       Child Loop BB12_10 Depth 3
	v_ashrrev_i32_e32 v2, 31, v1
	s_delay_alu instid0(VALU_DEP_1) | instskip(NEXT) | instid1(VALU_DEP_1)
	v_lshlrev_b64 v[2:3], 2, v[1:2]
	v_add_co_u32 v4, vcc_lo, s24, v2
	s_delay_alu instid0(VALU_DEP_2) | instskip(SKIP_3) | instid1(VALU_DEP_1)
	v_add_co_ci_u32_e32 v5, vcc_lo, s25, v3, vcc_lo
	global_load_b32 v4, v[4:5], off
	s_waitcnt vmcnt(0)
	v_subrev_nc_u32_e32 v4, s3, v4
	v_ashrrev_i32_e32 v5, 31, v4
	s_delay_alu instid0(VALU_DEP_1) | instskip(NEXT) | instid1(VALU_DEP_1)
	v_lshlrev_b64 v[5:6], 2, v[4:5]
	v_add_co_u32 v7, vcc_lo, s14, v5
	s_delay_alu instid0(VALU_DEP_2)
	v_add_co_ci_u32_e32 v8, vcc_lo, s15, v6, vcc_lo
	v_add_co_u32 v9, vcc_lo, s4, v5
	v_add_co_ci_u32_e32 v10, vcc_lo, s5, v6, vcc_lo
	global_load_b32 v7, v[7:8], off
	v_add_co_u32 v17, vcc_lo, s18, v5
	v_add_co_ci_u32_e32 v18, vcc_lo, s19, v6, vcc_lo
	v_add_co_u32 v19, vcc_lo, s26, v2
	v_add_co_ci_u32_e32 v20, vcc_lo, s27, v3, vcc_lo
	global_load_b32 v5, v[9:10], off
	global_load_b32 v6, v[17:18], off
	s_waitcnt vmcnt(2)
	v_subrev_nc_u32_e32 v7, s3, v7
	s_delay_alu instid0(VALU_DEP_1) | instskip(NEXT) | instid1(VALU_DEP_1)
	v_ashrrev_i32_e32 v8, 31, v7
	v_lshlrev_b64 v[7:8], 2, v[7:8]
	s_delay_alu instid0(VALU_DEP_1) | instskip(NEXT) | instid1(VALU_DEP_2)
	v_add_co_u32 v7, vcc_lo, s10, v7
	v_add_co_ci_u32_e32 v8, vcc_lo, s11, v8, vcc_lo
	s_waitcnt vmcnt(0)
	v_cmp_lt_i32_e32 vcc_lo, v6, v5
	global_load_b32 v18, v[19:20], off
	global_load_b32 v17, v[7:8], off
	v_mov_b32_e32 v19, 0
	s_and_b32 s1, s0, vcc_lo
	s_delay_alu instid0(SALU_CYCLE_1)
	s_and_saveexec_b32 s31, s1
	s_cbranch_execz .LBB12_13
; %bb.8:                                ;   in Loop: Header=BB12_7 Depth=2
	v_subrev_nc_u32_e32 v20, s3, v5
	v_subrev_nc_u32_e32 v5, s3, v6
	v_mov_b32_e32 v19, 0
	v_mov_b32_e32 v7, v16
	s_mov_b32 s33, 0
	s_branch .LBB12_10
.LBB12_9:                               ;   in Loop: Header=BB12_10 Depth=3
	s_or_b32 exec_lo, exec_lo, s1
	v_cmp_le_i32_e32 vcc_lo, v6, v21
	v_add_co_ci_u32_e32 v7, vcc_lo, 0, v7, vcc_lo
	v_cmp_ge_i32_e32 vcc_lo, v6, v21
	v_add_co_ci_u32_e32 v5, vcc_lo, 0, v5, vcc_lo
	s_delay_alu instid0(VALU_DEP_3) | instskip(NEXT) | instid1(VALU_DEP_2)
	v_cmp_ge_i32_e32 vcc_lo, v7, v15
	v_cmp_ge_i32_e64 s1, v5, v20
	s_delay_alu instid0(VALU_DEP_1) | instskip(NEXT) | instid1(SALU_CYCLE_1)
	s_or_b32 s1, vcc_lo, s1
	s_and_b32 s1, exec_lo, s1
	s_delay_alu instid0(SALU_CYCLE_1) | instskip(NEXT) | instid1(SALU_CYCLE_1)
	s_or_b32 s33, s1, s33
	s_and_not1_b32 exec_lo, exec_lo, s33
	s_cbranch_execz .LBB12_12
.LBB12_10:                              ;   Parent Loop BB12_3 Depth=1
                                        ;     Parent Loop BB12_7 Depth=2
                                        ; =>    This Inner Loop Header: Depth=3
	s_delay_alu instid0(VALU_DEP_1) | instskip(SKIP_2) | instid1(VALU_DEP_2)
	v_ashrrev_i32_e32 v8, 31, v7
	v_ashrrev_i32_e32 v6, 31, v5
	s_mov_b32 s1, exec_lo
	v_lshlrev_b64 v[8:9], 2, v[7:8]
	s_delay_alu instid0(VALU_DEP_2) | instskip(NEXT) | instid1(VALU_DEP_2)
	v_lshlrev_b64 v[10:11], 2, v[5:6]
	v_add_co_u32 v21, vcc_lo, s16, v8
	s_delay_alu instid0(VALU_DEP_3) | instskip(NEXT) | instid1(VALU_DEP_3)
	v_add_co_ci_u32_e32 v22, vcc_lo, s17, v9, vcc_lo
	v_add_co_u32 v23, vcc_lo, s6, v10
	s_delay_alu instid0(VALU_DEP_4)
	v_add_co_ci_u32_e32 v24, vcc_lo, s7, v11, vcc_lo
	global_load_b32 v6, v[21:22], off
	global_load_b32 v21, v[23:24], off
	s_waitcnt vmcnt(0)
	v_cmpx_eq_u32_e64 v6, v21
	s_cbranch_execz .LBB12_9
; %bb.11:                               ;   in Loop: Header=BB12_10 Depth=3
	v_add_co_u32 v10, vcc_lo, s8, v10
	v_add_co_ci_u32_e32 v11, vcc_lo, s9, v11, vcc_lo
	v_add_co_u32 v8, vcc_lo, s10, v8
	v_add_co_ci_u32_e32 v9, vcc_lo, s11, v9, vcc_lo
	global_load_b32 v10, v[10:11], off
	s_waitcnt vmcnt(0)
	v_ashrrev_i32_e32 v11, 31, v10
	s_delay_alu instid0(VALU_DEP_1) | instskip(NEXT) | instid1(VALU_DEP_1)
	v_lshlrev_b64 v[10:11], 2, v[10:11]
	v_add_co_u32 v10, vcc_lo, s10, v10
	s_delay_alu instid0(VALU_DEP_2)
	v_add_co_ci_u32_e32 v11, vcc_lo, s11, v11, vcc_lo
	s_clause 0x1
	global_load_b32 v8, v[8:9], off
	global_load_b32 v9, v[10:11], off
	s_waitcnt vmcnt(0)
	v_fmac_f32_e32 v19, v8, v9
	s_branch .LBB12_9
.LBB12_12:                              ;   in Loop: Header=BB12_7 Depth=2
	s_or_b32 exec_lo, exec_lo, s33
.LBB12_13:                              ;   in Loop: Header=BB12_7 Depth=2
	s_delay_alu instid0(SALU_CYCLE_1) | instskip(SKIP_3) | instid1(VALU_DEP_1)
	s_or_b32 exec_lo, exec_lo, s31
	s_waitcnt vmcnt(1)
	v_sub_f32_e32 v5, v18, v19
	s_waitcnt vmcnt(0)
	v_div_scale_f32 v6, null, v17, v17, v5
	s_delay_alu instid0(VALU_DEP_1) | instskip(SKIP_2) | instid1(VALU_DEP_1)
	v_rcp_f32_e32 v7, v6
	s_waitcnt_depctr 0xfff
	v_fma_f32 v8, -v6, v7, 1.0
	v_fmac_f32_e32 v7, v8, v7
	v_div_scale_f32 v8, vcc_lo, v5, v17, v5
	s_delay_alu instid0(VALU_DEP_1) | instskip(NEXT) | instid1(VALU_DEP_1)
	v_mul_f32_e32 v9, v8, v7
	v_fma_f32 v10, -v6, v9, v8
	s_delay_alu instid0(VALU_DEP_1) | instskip(NEXT) | instid1(VALU_DEP_1)
	v_fmac_f32_e32 v9, v10, v7
	v_fma_f32 v6, -v6, v9, v8
	s_delay_alu instid0(VALU_DEP_1) | instskip(SKIP_1) | instid1(VALU_DEP_2)
	v_div_fmas_f32 v6, v6, v7, v9
	v_cmp_gt_i32_e32 vcc_lo, v0, v4
	v_div_fixup_f32 v6, v6, v17, v5
	s_delay_alu instid0(VALU_DEP_1) | instskip(NEXT) | instid1(VALU_DEP_1)
	v_cndmask_b32_e32 v4, v5, v6, vcc_lo
	v_cmp_class_f32_e64 s31, v4, 0x1f8
	s_delay_alu instid0(VALU_DEP_1)
	s_and_saveexec_b32 s1, s31
	s_cbranch_execz .LBB12_6
; %bb.14:                               ;   in Loop: Header=BB12_7 Depth=2
	v_add_co_u32 v2, vcc_lo, s10, v2
	v_add_co_ci_u32_e32 v3, vcc_lo, s11, v3, vcc_lo
	global_store_b32 v[2:3], v4, off
	s_branch .LBB12_6
.LBB12_15:
	s_nop 0
	s_sendmsg sendmsg(MSG_DEALLOC_VGPRS)
	s_endpgm
	.section	.rodata,"a",@progbits
	.p2align	6, 0x0
	.amdhsa_kernel _ZN9rocsparseL16kernel_calculateILi1024ELi8ELb0EfiiEEvT4_T3_PKS2_S4_PKS1_PKT2_21rocsparse_index_base_S4_S4_S6_S4_S4_S6_S4_PS7_PNS_15floating_traitsIS7_E6data_tEPKSE_
		.amdhsa_group_segment_fixed_size 0
		.amdhsa_private_segment_fixed_size 0
		.amdhsa_kernarg_size 128
		.amdhsa_user_sgpr_count 15
		.amdhsa_user_sgpr_dispatch_ptr 0
		.amdhsa_user_sgpr_queue_ptr 0
		.amdhsa_user_sgpr_kernarg_segment_ptr 1
		.amdhsa_user_sgpr_dispatch_id 0
		.amdhsa_user_sgpr_private_segment_size 0
		.amdhsa_wavefront_size32 1
		.amdhsa_uses_dynamic_stack 0
		.amdhsa_enable_private_segment 0
		.amdhsa_system_sgpr_workgroup_id_x 1
		.amdhsa_system_sgpr_workgroup_id_y 0
		.amdhsa_system_sgpr_workgroup_id_z 0
		.amdhsa_system_sgpr_workgroup_info 0
		.amdhsa_system_vgpr_workitem_id 0
		.amdhsa_next_free_vgpr 25
		.amdhsa_next_free_sgpr 34
		.amdhsa_reserve_vcc 1
		.amdhsa_float_round_mode_32 0
		.amdhsa_float_round_mode_16_64 0
		.amdhsa_float_denorm_mode_32 3
		.amdhsa_float_denorm_mode_16_64 3
		.amdhsa_dx10_clamp 1
		.amdhsa_ieee_mode 1
		.amdhsa_fp16_overflow 0
		.amdhsa_workgroup_processor_mode 1
		.amdhsa_memory_ordered 1
		.amdhsa_forward_progress 0
		.amdhsa_shared_vgpr_count 0
		.amdhsa_exception_fp_ieee_invalid_op 0
		.amdhsa_exception_fp_denorm_src 0
		.amdhsa_exception_fp_ieee_div_zero 0
		.amdhsa_exception_fp_ieee_overflow 0
		.amdhsa_exception_fp_ieee_underflow 0
		.amdhsa_exception_fp_ieee_inexact 0
		.amdhsa_exception_int_div_zero 0
	.end_amdhsa_kernel
	.section	.text._ZN9rocsparseL16kernel_calculateILi1024ELi8ELb0EfiiEEvT4_T3_PKS2_S4_PKS1_PKT2_21rocsparse_index_base_S4_S4_S6_S4_S4_S6_S4_PS7_PNS_15floating_traitsIS7_E6data_tEPKSE_,"axG",@progbits,_ZN9rocsparseL16kernel_calculateILi1024ELi8ELb0EfiiEEvT4_T3_PKS2_S4_PKS1_PKT2_21rocsparse_index_base_S4_S4_S6_S4_S4_S6_S4_PS7_PNS_15floating_traitsIS7_E6data_tEPKSE_,comdat
.Lfunc_end12:
	.size	_ZN9rocsparseL16kernel_calculateILi1024ELi8ELb0EfiiEEvT4_T3_PKS2_S4_PKS1_PKT2_21rocsparse_index_base_S4_S4_S6_S4_S4_S6_S4_PS7_PNS_15floating_traitsIS7_E6data_tEPKSE_, .Lfunc_end12-_ZN9rocsparseL16kernel_calculateILi1024ELi8ELb0EfiiEEvT4_T3_PKS2_S4_PKS1_PKT2_21rocsparse_index_base_S4_S4_S6_S4_S4_S6_S4_PS7_PNS_15floating_traitsIS7_E6data_tEPKSE_
                                        ; -- End function
	.section	.AMDGPU.csdata,"",@progbits
; Kernel info:
; codeLenInByte = 1044
; NumSgprs: 36
; NumVgprs: 25
; ScratchSize: 0
; MemoryBound: 0
; FloatMode: 240
; IeeeMode: 1
; LDSByteSize: 0 bytes/workgroup (compile time only)
; SGPRBlocks: 4
; VGPRBlocks: 3
; NumSGPRsForWavesPerEU: 36
; NumVGPRsForWavesPerEU: 25
; Occupancy: 16
; WaveLimiterHint : 1
; COMPUTE_PGM_RSRC2:SCRATCH_EN: 0
; COMPUTE_PGM_RSRC2:USER_SGPR: 15
; COMPUTE_PGM_RSRC2:TRAP_HANDLER: 0
; COMPUTE_PGM_RSRC2:TGID_X_EN: 1
; COMPUTE_PGM_RSRC2:TGID_Y_EN: 0
; COMPUTE_PGM_RSRC2:TGID_Z_EN: 0
; COMPUTE_PGM_RSRC2:TIDIG_COMP_CNT: 0
	.section	.text._ZN9rocsparseL16kernel_calculateILi1024ELi16ELb0EfiiEEvT4_T3_PKS2_S4_PKS1_PKT2_21rocsparse_index_base_S4_S4_S6_S4_S4_S6_S4_PS7_PNS_15floating_traitsIS7_E6data_tEPKSE_,"axG",@progbits,_ZN9rocsparseL16kernel_calculateILi1024ELi16ELb0EfiiEEvT4_T3_PKS2_S4_PKS1_PKT2_21rocsparse_index_base_S4_S4_S6_S4_S4_S6_S4_PS7_PNS_15floating_traitsIS7_E6data_tEPKSE_,comdat
	.globl	_ZN9rocsparseL16kernel_calculateILi1024ELi16ELb0EfiiEEvT4_T3_PKS2_S4_PKS1_PKT2_21rocsparse_index_base_S4_S4_S6_S4_S4_S6_S4_PS7_PNS_15floating_traitsIS7_E6data_tEPKSE_ ; -- Begin function _ZN9rocsparseL16kernel_calculateILi1024ELi16ELb0EfiiEEvT4_T3_PKS2_S4_PKS1_PKT2_21rocsparse_index_base_S4_S4_S6_S4_S4_S6_S4_PS7_PNS_15floating_traitsIS7_E6data_tEPKSE_
	.p2align	8
	.type	_ZN9rocsparseL16kernel_calculateILi1024ELi16ELb0EfiiEEvT4_T3_PKS2_S4_PKS1_PKT2_21rocsparse_index_base_S4_S4_S6_S4_S4_S6_S4_PS7_PNS_15floating_traitsIS7_E6data_tEPKSE_,@function
_ZN9rocsparseL16kernel_calculateILi1024ELi16ELb0EfiiEEvT4_T3_PKS2_S4_PKS1_PKT2_21rocsparse_index_base_S4_S4_S6_S4_S4_S6_S4_PS7_PNS_15floating_traitsIS7_E6data_tEPKSE_: ; @_ZN9rocsparseL16kernel_calculateILi1024ELi16ELb0EfiiEEvT4_T3_PKS2_S4_PKS1_PKT2_21rocsparse_index_base_S4_S4_S6_S4_S4_S6_S4_PS7_PNS_15floating_traitsIS7_E6data_tEPKSE_
; %bb.0:
	s_load_b32 s2, s[0:1], 0x0
	v_lshrrev_b32_e32 v1, 4, v0
	s_mov_b32 s3, exec_lo
	s_delay_alu instid0(VALU_DEP_1) | instskip(SKIP_1) | instid1(VALU_DEP_1)
	v_lshl_or_b32 v12, s15, 10, v1
	s_waitcnt lgkmcnt(0)
	v_cmpx_gt_i32_e64 s2, v12
	s_cbranch_execz .LBB13_15
; %bb.1:
	s_clause 0x3
	s_load_b32 s3, s[0:1], 0x28
	s_load_b256 s[4:11], s[0:1], 0x50
	s_load_b256 s[12:19], s[0:1], 0x30
	;; [unrolled: 1-line block ×3, first 2 shown]
	v_and_b32_e32 v0, 15, v0
	s_mov_b32 s28, 0
	s_waitcnt lgkmcnt(0)
	s_delay_alu instid0(VALU_DEP_1)
	v_subrev_nc_u32_e32 v13, s3, v0
	s_branch .LBB13_3
.LBB13_2:                               ;   in Loop: Header=BB13_3 Depth=1
	s_or_b32 exec_lo, exec_lo, s29
	s_add_i32 s28, s28, 1
	s_delay_alu instid0(SALU_CYCLE_1)
	s_cmp_lg_u32 s28, 16
	s_cbranch_scc0 .LBB13_15
.LBB13_3:                               ; =>This Loop Header: Depth=1
                                        ;     Child Loop BB13_7 Depth 2
                                        ;       Child Loop BB13_10 Depth 3
	v_lshl_add_u32 v0, s28, 6, v12
	s_mov_b32 s29, exec_lo
	s_delay_alu instid0(VALU_DEP_1)
	v_cmpx_gt_i32_e64 s2, v0
	s_cbranch_execz .LBB13_2
; %bb.4:                                ;   in Loop: Header=BB13_3 Depth=1
	v_ashrrev_i32_e32 v1, 31, v0
	s_delay_alu instid0(VALU_DEP_1) | instskip(NEXT) | instid1(VALU_DEP_1)
	v_lshlrev_b64 v[2:3], 2, v[0:1]
	v_add_co_u32 v4, vcc_lo, s22, v2
	s_delay_alu instid0(VALU_DEP_2)
	v_add_co_ci_u32_e32 v5, vcc_lo, s23, v3, vcc_lo
	v_add_co_u32 v6, vcc_lo, s20, v2
	v_add_co_ci_u32_e32 v7, vcc_lo, s21, v3, vcc_lo
	global_load_b32 v1, v[4:5], off
	global_load_b32 v4, v[6:7], off
	s_waitcnt vmcnt(1)
	v_subrev_nc_u32_e32 v14, s3, v1
	s_waitcnt vmcnt(0)
	v_add_nc_u32_e32 v1, v13, v4
	s_delay_alu instid0(VALU_DEP_1)
	v_cmp_lt_i32_e32 vcc_lo, v1, v14
	s_and_b32 exec_lo, exec_lo, vcc_lo
	s_cbranch_execz .LBB13_2
; %bb.5:                                ;   in Loop: Header=BB13_3 Depth=1
	v_add_co_u32 v4, vcc_lo, s14, v2
	v_add_co_ci_u32_e32 v5, vcc_lo, s15, v3, vcc_lo
	v_add_co_u32 v2, vcc_lo, s12, v2
	v_add_co_ci_u32_e32 v3, vcc_lo, s13, v3, vcc_lo
	s_mov_b32 s30, 0
	global_load_b32 v4, v[4:5], off
	global_load_b32 v2, v[2:3], off
	s_waitcnt vmcnt(1)
	v_subrev_nc_u32_e32 v15, s3, v4
	s_waitcnt vmcnt(0)
	v_cmp_lt_i32_e64 s0, v2, v4
	v_subrev_nc_u32_e32 v16, s3, v2
	s_branch .LBB13_7
.LBB13_6:                               ;   in Loop: Header=BB13_7 Depth=2
	s_or_b32 exec_lo, exec_lo, s1
	v_add_nc_u32_e32 v1, 16, v1
	s_delay_alu instid0(VALU_DEP_1) | instskip(SKIP_1) | instid1(SALU_CYCLE_1)
	v_cmp_ge_i32_e32 vcc_lo, v1, v14
	s_or_b32 s30, vcc_lo, s30
	s_and_not1_b32 exec_lo, exec_lo, s30
	s_cbranch_execz .LBB13_2
.LBB13_7:                               ;   Parent Loop BB13_3 Depth=1
                                        ; =>  This Loop Header: Depth=2
                                        ;       Child Loop BB13_10 Depth 3
	v_ashrrev_i32_e32 v2, 31, v1
	s_delay_alu instid0(VALU_DEP_1) | instskip(NEXT) | instid1(VALU_DEP_1)
	v_lshlrev_b64 v[2:3], 2, v[1:2]
	v_add_co_u32 v4, vcc_lo, s24, v2
	s_delay_alu instid0(VALU_DEP_2) | instskip(SKIP_3) | instid1(VALU_DEP_1)
	v_add_co_ci_u32_e32 v5, vcc_lo, s25, v3, vcc_lo
	global_load_b32 v4, v[4:5], off
	s_waitcnt vmcnt(0)
	v_subrev_nc_u32_e32 v4, s3, v4
	v_ashrrev_i32_e32 v5, 31, v4
	s_delay_alu instid0(VALU_DEP_1) | instskip(NEXT) | instid1(VALU_DEP_1)
	v_lshlrev_b64 v[5:6], 2, v[4:5]
	v_add_co_u32 v7, vcc_lo, s14, v5
	s_delay_alu instid0(VALU_DEP_2)
	v_add_co_ci_u32_e32 v8, vcc_lo, s15, v6, vcc_lo
	v_add_co_u32 v9, vcc_lo, s4, v5
	v_add_co_ci_u32_e32 v10, vcc_lo, s5, v6, vcc_lo
	global_load_b32 v7, v[7:8], off
	v_add_co_u32 v17, vcc_lo, s18, v5
	v_add_co_ci_u32_e32 v18, vcc_lo, s19, v6, vcc_lo
	v_add_co_u32 v19, vcc_lo, s26, v2
	v_add_co_ci_u32_e32 v20, vcc_lo, s27, v3, vcc_lo
	global_load_b32 v5, v[9:10], off
	global_load_b32 v6, v[17:18], off
	s_waitcnt vmcnt(2)
	v_subrev_nc_u32_e32 v7, s3, v7
	s_delay_alu instid0(VALU_DEP_1) | instskip(NEXT) | instid1(VALU_DEP_1)
	v_ashrrev_i32_e32 v8, 31, v7
	v_lshlrev_b64 v[7:8], 2, v[7:8]
	s_delay_alu instid0(VALU_DEP_1) | instskip(NEXT) | instid1(VALU_DEP_2)
	v_add_co_u32 v7, vcc_lo, s10, v7
	v_add_co_ci_u32_e32 v8, vcc_lo, s11, v8, vcc_lo
	s_waitcnt vmcnt(0)
	v_cmp_lt_i32_e32 vcc_lo, v6, v5
	global_load_b32 v18, v[19:20], off
	global_load_b32 v17, v[7:8], off
	v_mov_b32_e32 v19, 0
	s_and_b32 s1, s0, vcc_lo
	s_delay_alu instid0(SALU_CYCLE_1)
	s_and_saveexec_b32 s31, s1
	s_cbranch_execz .LBB13_13
; %bb.8:                                ;   in Loop: Header=BB13_7 Depth=2
	v_subrev_nc_u32_e32 v20, s3, v5
	v_subrev_nc_u32_e32 v5, s3, v6
	v_mov_b32_e32 v19, 0
	v_mov_b32_e32 v7, v16
	s_mov_b32 s33, 0
	s_branch .LBB13_10
.LBB13_9:                               ;   in Loop: Header=BB13_10 Depth=3
	s_or_b32 exec_lo, exec_lo, s1
	v_cmp_le_i32_e32 vcc_lo, v6, v21
	v_add_co_ci_u32_e32 v7, vcc_lo, 0, v7, vcc_lo
	v_cmp_ge_i32_e32 vcc_lo, v6, v21
	v_add_co_ci_u32_e32 v5, vcc_lo, 0, v5, vcc_lo
	s_delay_alu instid0(VALU_DEP_3) | instskip(NEXT) | instid1(VALU_DEP_2)
	v_cmp_ge_i32_e32 vcc_lo, v7, v15
	v_cmp_ge_i32_e64 s1, v5, v20
	s_delay_alu instid0(VALU_DEP_1) | instskip(NEXT) | instid1(SALU_CYCLE_1)
	s_or_b32 s1, vcc_lo, s1
	s_and_b32 s1, exec_lo, s1
	s_delay_alu instid0(SALU_CYCLE_1) | instskip(NEXT) | instid1(SALU_CYCLE_1)
	s_or_b32 s33, s1, s33
	s_and_not1_b32 exec_lo, exec_lo, s33
	s_cbranch_execz .LBB13_12
.LBB13_10:                              ;   Parent Loop BB13_3 Depth=1
                                        ;     Parent Loop BB13_7 Depth=2
                                        ; =>    This Inner Loop Header: Depth=3
	s_delay_alu instid0(VALU_DEP_1) | instskip(SKIP_2) | instid1(VALU_DEP_2)
	v_ashrrev_i32_e32 v8, 31, v7
	v_ashrrev_i32_e32 v6, 31, v5
	s_mov_b32 s1, exec_lo
	v_lshlrev_b64 v[8:9], 2, v[7:8]
	s_delay_alu instid0(VALU_DEP_2) | instskip(NEXT) | instid1(VALU_DEP_2)
	v_lshlrev_b64 v[10:11], 2, v[5:6]
	v_add_co_u32 v21, vcc_lo, s16, v8
	s_delay_alu instid0(VALU_DEP_3) | instskip(NEXT) | instid1(VALU_DEP_3)
	v_add_co_ci_u32_e32 v22, vcc_lo, s17, v9, vcc_lo
	v_add_co_u32 v23, vcc_lo, s6, v10
	s_delay_alu instid0(VALU_DEP_4)
	v_add_co_ci_u32_e32 v24, vcc_lo, s7, v11, vcc_lo
	global_load_b32 v6, v[21:22], off
	global_load_b32 v21, v[23:24], off
	s_waitcnt vmcnt(0)
	v_cmpx_eq_u32_e64 v6, v21
	s_cbranch_execz .LBB13_9
; %bb.11:                               ;   in Loop: Header=BB13_10 Depth=3
	v_add_co_u32 v10, vcc_lo, s8, v10
	v_add_co_ci_u32_e32 v11, vcc_lo, s9, v11, vcc_lo
	v_add_co_u32 v8, vcc_lo, s10, v8
	v_add_co_ci_u32_e32 v9, vcc_lo, s11, v9, vcc_lo
	global_load_b32 v10, v[10:11], off
	s_waitcnt vmcnt(0)
	v_ashrrev_i32_e32 v11, 31, v10
	s_delay_alu instid0(VALU_DEP_1) | instskip(NEXT) | instid1(VALU_DEP_1)
	v_lshlrev_b64 v[10:11], 2, v[10:11]
	v_add_co_u32 v10, vcc_lo, s10, v10
	s_delay_alu instid0(VALU_DEP_2)
	v_add_co_ci_u32_e32 v11, vcc_lo, s11, v11, vcc_lo
	s_clause 0x1
	global_load_b32 v8, v[8:9], off
	global_load_b32 v9, v[10:11], off
	s_waitcnt vmcnt(0)
	v_fmac_f32_e32 v19, v8, v9
	s_branch .LBB13_9
.LBB13_12:                              ;   in Loop: Header=BB13_7 Depth=2
	s_or_b32 exec_lo, exec_lo, s33
.LBB13_13:                              ;   in Loop: Header=BB13_7 Depth=2
	s_delay_alu instid0(SALU_CYCLE_1) | instskip(SKIP_3) | instid1(VALU_DEP_1)
	s_or_b32 exec_lo, exec_lo, s31
	s_waitcnt vmcnt(1)
	v_sub_f32_e32 v5, v18, v19
	s_waitcnt vmcnt(0)
	v_div_scale_f32 v6, null, v17, v17, v5
	s_delay_alu instid0(VALU_DEP_1) | instskip(SKIP_2) | instid1(VALU_DEP_1)
	v_rcp_f32_e32 v7, v6
	s_waitcnt_depctr 0xfff
	v_fma_f32 v8, -v6, v7, 1.0
	v_fmac_f32_e32 v7, v8, v7
	v_div_scale_f32 v8, vcc_lo, v5, v17, v5
	s_delay_alu instid0(VALU_DEP_1) | instskip(NEXT) | instid1(VALU_DEP_1)
	v_mul_f32_e32 v9, v8, v7
	v_fma_f32 v10, -v6, v9, v8
	s_delay_alu instid0(VALU_DEP_1) | instskip(NEXT) | instid1(VALU_DEP_1)
	v_fmac_f32_e32 v9, v10, v7
	v_fma_f32 v6, -v6, v9, v8
	s_delay_alu instid0(VALU_DEP_1) | instskip(SKIP_1) | instid1(VALU_DEP_2)
	v_div_fmas_f32 v6, v6, v7, v9
	v_cmp_gt_i32_e32 vcc_lo, v0, v4
	v_div_fixup_f32 v6, v6, v17, v5
	s_delay_alu instid0(VALU_DEP_1) | instskip(NEXT) | instid1(VALU_DEP_1)
	v_cndmask_b32_e32 v4, v5, v6, vcc_lo
	v_cmp_class_f32_e64 s31, v4, 0x1f8
	s_delay_alu instid0(VALU_DEP_1)
	s_and_saveexec_b32 s1, s31
	s_cbranch_execz .LBB13_6
; %bb.14:                               ;   in Loop: Header=BB13_7 Depth=2
	v_add_co_u32 v2, vcc_lo, s10, v2
	v_add_co_ci_u32_e32 v3, vcc_lo, s11, v3, vcc_lo
	global_store_b32 v[2:3], v4, off
	s_branch .LBB13_6
.LBB13_15:
	s_nop 0
	s_sendmsg sendmsg(MSG_DEALLOC_VGPRS)
	s_endpgm
	.section	.rodata,"a",@progbits
	.p2align	6, 0x0
	.amdhsa_kernel _ZN9rocsparseL16kernel_calculateILi1024ELi16ELb0EfiiEEvT4_T3_PKS2_S4_PKS1_PKT2_21rocsparse_index_base_S4_S4_S6_S4_S4_S6_S4_PS7_PNS_15floating_traitsIS7_E6data_tEPKSE_
		.amdhsa_group_segment_fixed_size 0
		.amdhsa_private_segment_fixed_size 0
		.amdhsa_kernarg_size 128
		.amdhsa_user_sgpr_count 15
		.amdhsa_user_sgpr_dispatch_ptr 0
		.amdhsa_user_sgpr_queue_ptr 0
		.amdhsa_user_sgpr_kernarg_segment_ptr 1
		.amdhsa_user_sgpr_dispatch_id 0
		.amdhsa_user_sgpr_private_segment_size 0
		.amdhsa_wavefront_size32 1
		.amdhsa_uses_dynamic_stack 0
		.amdhsa_enable_private_segment 0
		.amdhsa_system_sgpr_workgroup_id_x 1
		.amdhsa_system_sgpr_workgroup_id_y 0
		.amdhsa_system_sgpr_workgroup_id_z 0
		.amdhsa_system_sgpr_workgroup_info 0
		.amdhsa_system_vgpr_workitem_id 0
		.amdhsa_next_free_vgpr 25
		.amdhsa_next_free_sgpr 34
		.amdhsa_reserve_vcc 1
		.amdhsa_float_round_mode_32 0
		.amdhsa_float_round_mode_16_64 0
		.amdhsa_float_denorm_mode_32 3
		.amdhsa_float_denorm_mode_16_64 3
		.amdhsa_dx10_clamp 1
		.amdhsa_ieee_mode 1
		.amdhsa_fp16_overflow 0
		.amdhsa_workgroup_processor_mode 1
		.amdhsa_memory_ordered 1
		.amdhsa_forward_progress 0
		.amdhsa_shared_vgpr_count 0
		.amdhsa_exception_fp_ieee_invalid_op 0
		.amdhsa_exception_fp_denorm_src 0
		.amdhsa_exception_fp_ieee_div_zero 0
		.amdhsa_exception_fp_ieee_overflow 0
		.amdhsa_exception_fp_ieee_underflow 0
		.amdhsa_exception_fp_ieee_inexact 0
		.amdhsa_exception_int_div_zero 0
	.end_amdhsa_kernel
	.section	.text._ZN9rocsparseL16kernel_calculateILi1024ELi16ELb0EfiiEEvT4_T3_PKS2_S4_PKS1_PKT2_21rocsparse_index_base_S4_S4_S6_S4_S4_S6_S4_PS7_PNS_15floating_traitsIS7_E6data_tEPKSE_,"axG",@progbits,_ZN9rocsparseL16kernel_calculateILi1024ELi16ELb0EfiiEEvT4_T3_PKS2_S4_PKS1_PKT2_21rocsparse_index_base_S4_S4_S6_S4_S4_S6_S4_PS7_PNS_15floating_traitsIS7_E6data_tEPKSE_,comdat
.Lfunc_end13:
	.size	_ZN9rocsparseL16kernel_calculateILi1024ELi16ELb0EfiiEEvT4_T3_PKS2_S4_PKS1_PKT2_21rocsparse_index_base_S4_S4_S6_S4_S4_S6_S4_PS7_PNS_15floating_traitsIS7_E6data_tEPKSE_, .Lfunc_end13-_ZN9rocsparseL16kernel_calculateILi1024ELi16ELb0EfiiEEvT4_T3_PKS2_S4_PKS1_PKT2_21rocsparse_index_base_S4_S4_S6_S4_S4_S6_S4_PS7_PNS_15floating_traitsIS7_E6data_tEPKSE_
                                        ; -- End function
	.section	.AMDGPU.csdata,"",@progbits
; Kernel info:
; codeLenInByte = 1044
; NumSgprs: 36
; NumVgprs: 25
; ScratchSize: 0
; MemoryBound: 0
; FloatMode: 240
; IeeeMode: 1
; LDSByteSize: 0 bytes/workgroup (compile time only)
; SGPRBlocks: 4
; VGPRBlocks: 3
; NumSGPRsForWavesPerEU: 36
; NumVGPRsForWavesPerEU: 25
; Occupancy: 16
; WaveLimiterHint : 1
; COMPUTE_PGM_RSRC2:SCRATCH_EN: 0
; COMPUTE_PGM_RSRC2:USER_SGPR: 15
; COMPUTE_PGM_RSRC2:TRAP_HANDLER: 0
; COMPUTE_PGM_RSRC2:TGID_X_EN: 1
; COMPUTE_PGM_RSRC2:TGID_Y_EN: 0
; COMPUTE_PGM_RSRC2:TGID_Z_EN: 0
; COMPUTE_PGM_RSRC2:TIDIG_COMP_CNT: 0
	.section	.text._ZN9rocsparseL16kernel_calculateILi1024ELi32ELb0EfiiEEvT4_T3_PKS2_S4_PKS1_PKT2_21rocsparse_index_base_S4_S4_S6_S4_S4_S6_S4_PS7_PNS_15floating_traitsIS7_E6data_tEPKSE_,"axG",@progbits,_ZN9rocsparseL16kernel_calculateILi1024ELi32ELb0EfiiEEvT4_T3_PKS2_S4_PKS1_PKT2_21rocsparse_index_base_S4_S4_S6_S4_S4_S6_S4_PS7_PNS_15floating_traitsIS7_E6data_tEPKSE_,comdat
	.globl	_ZN9rocsparseL16kernel_calculateILi1024ELi32ELb0EfiiEEvT4_T3_PKS2_S4_PKS1_PKT2_21rocsparse_index_base_S4_S4_S6_S4_S4_S6_S4_PS7_PNS_15floating_traitsIS7_E6data_tEPKSE_ ; -- Begin function _ZN9rocsparseL16kernel_calculateILi1024ELi32ELb0EfiiEEvT4_T3_PKS2_S4_PKS1_PKT2_21rocsparse_index_base_S4_S4_S6_S4_S4_S6_S4_PS7_PNS_15floating_traitsIS7_E6data_tEPKSE_
	.p2align	8
	.type	_ZN9rocsparseL16kernel_calculateILi1024ELi32ELb0EfiiEEvT4_T3_PKS2_S4_PKS1_PKT2_21rocsparse_index_base_S4_S4_S6_S4_S4_S6_S4_PS7_PNS_15floating_traitsIS7_E6data_tEPKSE_,@function
_ZN9rocsparseL16kernel_calculateILi1024ELi32ELb0EfiiEEvT4_T3_PKS2_S4_PKS1_PKT2_21rocsparse_index_base_S4_S4_S6_S4_S4_S6_S4_PS7_PNS_15floating_traitsIS7_E6data_tEPKSE_: ; @_ZN9rocsparseL16kernel_calculateILi1024ELi32ELb0EfiiEEvT4_T3_PKS2_S4_PKS1_PKT2_21rocsparse_index_base_S4_S4_S6_S4_S4_S6_S4_PS7_PNS_15floating_traitsIS7_E6data_tEPKSE_
; %bb.0:
	s_load_b32 s2, s[0:1], 0x0
	v_lshrrev_b32_e32 v1, 5, v0
	s_mov_b32 s3, exec_lo
	s_delay_alu instid0(VALU_DEP_1) | instskip(SKIP_1) | instid1(VALU_DEP_1)
	v_lshl_or_b32 v12, s15, 10, v1
	s_waitcnt lgkmcnt(0)
	v_cmpx_gt_i32_e64 s2, v12
	s_cbranch_execz .LBB14_15
; %bb.1:
	s_clause 0x3
	s_load_b32 s3, s[0:1], 0x28
	s_load_b256 s[4:11], s[0:1], 0x50
	s_load_b256 s[12:19], s[0:1], 0x30
	;; [unrolled: 1-line block ×3, first 2 shown]
	v_and_b32_e32 v0, 31, v0
	s_mov_b32 s28, 0
	s_waitcnt lgkmcnt(0)
	s_delay_alu instid0(VALU_DEP_1)
	v_subrev_nc_u32_e32 v13, s3, v0
	s_branch .LBB14_3
.LBB14_2:                               ;   in Loop: Header=BB14_3 Depth=1
	s_or_b32 exec_lo, exec_lo, s29
	s_add_i32 s28, s28, 1
	s_delay_alu instid0(SALU_CYCLE_1)
	s_cmp_lg_u32 s28, 32
	s_cbranch_scc0 .LBB14_15
.LBB14_3:                               ; =>This Loop Header: Depth=1
                                        ;     Child Loop BB14_7 Depth 2
                                        ;       Child Loop BB14_10 Depth 3
	v_lshl_add_u32 v0, s28, 5, v12
	s_mov_b32 s29, exec_lo
	s_delay_alu instid0(VALU_DEP_1)
	v_cmpx_gt_i32_e64 s2, v0
	s_cbranch_execz .LBB14_2
; %bb.4:                                ;   in Loop: Header=BB14_3 Depth=1
	v_ashrrev_i32_e32 v1, 31, v0
	s_delay_alu instid0(VALU_DEP_1) | instskip(NEXT) | instid1(VALU_DEP_1)
	v_lshlrev_b64 v[2:3], 2, v[0:1]
	v_add_co_u32 v4, vcc_lo, s22, v2
	s_delay_alu instid0(VALU_DEP_2)
	v_add_co_ci_u32_e32 v5, vcc_lo, s23, v3, vcc_lo
	v_add_co_u32 v6, vcc_lo, s20, v2
	v_add_co_ci_u32_e32 v7, vcc_lo, s21, v3, vcc_lo
	global_load_b32 v1, v[4:5], off
	global_load_b32 v4, v[6:7], off
	s_waitcnt vmcnt(1)
	v_subrev_nc_u32_e32 v14, s3, v1
	s_waitcnt vmcnt(0)
	v_add_nc_u32_e32 v1, v13, v4
	s_delay_alu instid0(VALU_DEP_1)
	v_cmp_lt_i32_e32 vcc_lo, v1, v14
	s_and_b32 exec_lo, exec_lo, vcc_lo
	s_cbranch_execz .LBB14_2
; %bb.5:                                ;   in Loop: Header=BB14_3 Depth=1
	v_add_co_u32 v4, vcc_lo, s14, v2
	v_add_co_ci_u32_e32 v5, vcc_lo, s15, v3, vcc_lo
	v_add_co_u32 v2, vcc_lo, s12, v2
	v_add_co_ci_u32_e32 v3, vcc_lo, s13, v3, vcc_lo
	s_mov_b32 s30, 0
	global_load_b32 v4, v[4:5], off
	global_load_b32 v2, v[2:3], off
	s_waitcnt vmcnt(1)
	v_subrev_nc_u32_e32 v15, s3, v4
	s_waitcnt vmcnt(0)
	v_cmp_lt_i32_e64 s0, v2, v4
	v_subrev_nc_u32_e32 v16, s3, v2
	s_branch .LBB14_7
.LBB14_6:                               ;   in Loop: Header=BB14_7 Depth=2
	s_or_b32 exec_lo, exec_lo, s1
	v_add_nc_u32_e32 v1, 32, v1
	s_delay_alu instid0(VALU_DEP_1) | instskip(SKIP_1) | instid1(SALU_CYCLE_1)
	v_cmp_ge_i32_e32 vcc_lo, v1, v14
	s_or_b32 s30, vcc_lo, s30
	s_and_not1_b32 exec_lo, exec_lo, s30
	s_cbranch_execz .LBB14_2
.LBB14_7:                               ;   Parent Loop BB14_3 Depth=1
                                        ; =>  This Loop Header: Depth=2
                                        ;       Child Loop BB14_10 Depth 3
	v_ashrrev_i32_e32 v2, 31, v1
	s_delay_alu instid0(VALU_DEP_1) | instskip(NEXT) | instid1(VALU_DEP_1)
	v_lshlrev_b64 v[2:3], 2, v[1:2]
	v_add_co_u32 v4, vcc_lo, s24, v2
	s_delay_alu instid0(VALU_DEP_2) | instskip(SKIP_3) | instid1(VALU_DEP_1)
	v_add_co_ci_u32_e32 v5, vcc_lo, s25, v3, vcc_lo
	global_load_b32 v4, v[4:5], off
	s_waitcnt vmcnt(0)
	v_subrev_nc_u32_e32 v4, s3, v4
	v_ashrrev_i32_e32 v5, 31, v4
	s_delay_alu instid0(VALU_DEP_1) | instskip(NEXT) | instid1(VALU_DEP_1)
	v_lshlrev_b64 v[5:6], 2, v[4:5]
	v_add_co_u32 v7, vcc_lo, s14, v5
	s_delay_alu instid0(VALU_DEP_2)
	v_add_co_ci_u32_e32 v8, vcc_lo, s15, v6, vcc_lo
	v_add_co_u32 v9, vcc_lo, s4, v5
	v_add_co_ci_u32_e32 v10, vcc_lo, s5, v6, vcc_lo
	global_load_b32 v7, v[7:8], off
	v_add_co_u32 v17, vcc_lo, s18, v5
	v_add_co_ci_u32_e32 v18, vcc_lo, s19, v6, vcc_lo
	v_add_co_u32 v19, vcc_lo, s26, v2
	v_add_co_ci_u32_e32 v20, vcc_lo, s27, v3, vcc_lo
	global_load_b32 v5, v[9:10], off
	global_load_b32 v6, v[17:18], off
	s_waitcnt vmcnt(2)
	v_subrev_nc_u32_e32 v7, s3, v7
	s_delay_alu instid0(VALU_DEP_1) | instskip(NEXT) | instid1(VALU_DEP_1)
	v_ashrrev_i32_e32 v8, 31, v7
	v_lshlrev_b64 v[7:8], 2, v[7:8]
	s_delay_alu instid0(VALU_DEP_1) | instskip(NEXT) | instid1(VALU_DEP_2)
	v_add_co_u32 v7, vcc_lo, s10, v7
	v_add_co_ci_u32_e32 v8, vcc_lo, s11, v8, vcc_lo
	s_waitcnt vmcnt(0)
	v_cmp_lt_i32_e32 vcc_lo, v6, v5
	global_load_b32 v18, v[19:20], off
	global_load_b32 v17, v[7:8], off
	v_mov_b32_e32 v19, 0
	s_and_b32 s1, s0, vcc_lo
	s_delay_alu instid0(SALU_CYCLE_1)
	s_and_saveexec_b32 s31, s1
	s_cbranch_execz .LBB14_13
; %bb.8:                                ;   in Loop: Header=BB14_7 Depth=2
	v_subrev_nc_u32_e32 v20, s3, v5
	v_subrev_nc_u32_e32 v5, s3, v6
	v_mov_b32_e32 v19, 0
	v_mov_b32_e32 v7, v16
	s_mov_b32 s33, 0
	s_branch .LBB14_10
.LBB14_9:                               ;   in Loop: Header=BB14_10 Depth=3
	s_or_b32 exec_lo, exec_lo, s1
	v_cmp_le_i32_e32 vcc_lo, v6, v21
	v_add_co_ci_u32_e32 v7, vcc_lo, 0, v7, vcc_lo
	v_cmp_ge_i32_e32 vcc_lo, v6, v21
	v_add_co_ci_u32_e32 v5, vcc_lo, 0, v5, vcc_lo
	s_delay_alu instid0(VALU_DEP_3) | instskip(NEXT) | instid1(VALU_DEP_2)
	v_cmp_ge_i32_e32 vcc_lo, v7, v15
	v_cmp_ge_i32_e64 s1, v5, v20
	s_delay_alu instid0(VALU_DEP_1) | instskip(NEXT) | instid1(SALU_CYCLE_1)
	s_or_b32 s1, vcc_lo, s1
	s_and_b32 s1, exec_lo, s1
	s_delay_alu instid0(SALU_CYCLE_1) | instskip(NEXT) | instid1(SALU_CYCLE_1)
	s_or_b32 s33, s1, s33
	s_and_not1_b32 exec_lo, exec_lo, s33
	s_cbranch_execz .LBB14_12
.LBB14_10:                              ;   Parent Loop BB14_3 Depth=1
                                        ;     Parent Loop BB14_7 Depth=2
                                        ; =>    This Inner Loop Header: Depth=3
	s_delay_alu instid0(VALU_DEP_1) | instskip(SKIP_2) | instid1(VALU_DEP_2)
	v_ashrrev_i32_e32 v8, 31, v7
	v_ashrrev_i32_e32 v6, 31, v5
	s_mov_b32 s1, exec_lo
	v_lshlrev_b64 v[8:9], 2, v[7:8]
	s_delay_alu instid0(VALU_DEP_2) | instskip(NEXT) | instid1(VALU_DEP_2)
	v_lshlrev_b64 v[10:11], 2, v[5:6]
	v_add_co_u32 v21, vcc_lo, s16, v8
	s_delay_alu instid0(VALU_DEP_3) | instskip(NEXT) | instid1(VALU_DEP_3)
	v_add_co_ci_u32_e32 v22, vcc_lo, s17, v9, vcc_lo
	v_add_co_u32 v23, vcc_lo, s6, v10
	s_delay_alu instid0(VALU_DEP_4)
	v_add_co_ci_u32_e32 v24, vcc_lo, s7, v11, vcc_lo
	global_load_b32 v6, v[21:22], off
	global_load_b32 v21, v[23:24], off
	s_waitcnt vmcnt(0)
	v_cmpx_eq_u32_e64 v6, v21
	s_cbranch_execz .LBB14_9
; %bb.11:                               ;   in Loop: Header=BB14_10 Depth=3
	v_add_co_u32 v10, vcc_lo, s8, v10
	v_add_co_ci_u32_e32 v11, vcc_lo, s9, v11, vcc_lo
	v_add_co_u32 v8, vcc_lo, s10, v8
	v_add_co_ci_u32_e32 v9, vcc_lo, s11, v9, vcc_lo
	global_load_b32 v10, v[10:11], off
	s_waitcnt vmcnt(0)
	v_ashrrev_i32_e32 v11, 31, v10
	s_delay_alu instid0(VALU_DEP_1) | instskip(NEXT) | instid1(VALU_DEP_1)
	v_lshlrev_b64 v[10:11], 2, v[10:11]
	v_add_co_u32 v10, vcc_lo, s10, v10
	s_delay_alu instid0(VALU_DEP_2)
	v_add_co_ci_u32_e32 v11, vcc_lo, s11, v11, vcc_lo
	s_clause 0x1
	global_load_b32 v8, v[8:9], off
	global_load_b32 v9, v[10:11], off
	s_waitcnt vmcnt(0)
	v_fmac_f32_e32 v19, v8, v9
	s_branch .LBB14_9
.LBB14_12:                              ;   in Loop: Header=BB14_7 Depth=2
	s_or_b32 exec_lo, exec_lo, s33
.LBB14_13:                              ;   in Loop: Header=BB14_7 Depth=2
	s_delay_alu instid0(SALU_CYCLE_1) | instskip(SKIP_3) | instid1(VALU_DEP_1)
	s_or_b32 exec_lo, exec_lo, s31
	s_waitcnt vmcnt(1)
	v_sub_f32_e32 v5, v18, v19
	s_waitcnt vmcnt(0)
	v_div_scale_f32 v6, null, v17, v17, v5
	s_delay_alu instid0(VALU_DEP_1) | instskip(SKIP_2) | instid1(VALU_DEP_1)
	v_rcp_f32_e32 v7, v6
	s_waitcnt_depctr 0xfff
	v_fma_f32 v8, -v6, v7, 1.0
	v_fmac_f32_e32 v7, v8, v7
	v_div_scale_f32 v8, vcc_lo, v5, v17, v5
	s_delay_alu instid0(VALU_DEP_1) | instskip(NEXT) | instid1(VALU_DEP_1)
	v_mul_f32_e32 v9, v8, v7
	v_fma_f32 v10, -v6, v9, v8
	s_delay_alu instid0(VALU_DEP_1) | instskip(NEXT) | instid1(VALU_DEP_1)
	v_fmac_f32_e32 v9, v10, v7
	v_fma_f32 v6, -v6, v9, v8
	s_delay_alu instid0(VALU_DEP_1) | instskip(SKIP_1) | instid1(VALU_DEP_2)
	v_div_fmas_f32 v6, v6, v7, v9
	v_cmp_gt_i32_e32 vcc_lo, v0, v4
	v_div_fixup_f32 v6, v6, v17, v5
	s_delay_alu instid0(VALU_DEP_1) | instskip(NEXT) | instid1(VALU_DEP_1)
	v_cndmask_b32_e32 v4, v5, v6, vcc_lo
	v_cmp_class_f32_e64 s31, v4, 0x1f8
	s_delay_alu instid0(VALU_DEP_1)
	s_and_saveexec_b32 s1, s31
	s_cbranch_execz .LBB14_6
; %bb.14:                               ;   in Loop: Header=BB14_7 Depth=2
	v_add_co_u32 v2, vcc_lo, s10, v2
	v_add_co_ci_u32_e32 v3, vcc_lo, s11, v3, vcc_lo
	global_store_b32 v[2:3], v4, off
	s_branch .LBB14_6
.LBB14_15:
	s_nop 0
	s_sendmsg sendmsg(MSG_DEALLOC_VGPRS)
	s_endpgm
	.section	.rodata,"a",@progbits
	.p2align	6, 0x0
	.amdhsa_kernel _ZN9rocsparseL16kernel_calculateILi1024ELi32ELb0EfiiEEvT4_T3_PKS2_S4_PKS1_PKT2_21rocsparse_index_base_S4_S4_S6_S4_S4_S6_S4_PS7_PNS_15floating_traitsIS7_E6data_tEPKSE_
		.amdhsa_group_segment_fixed_size 0
		.amdhsa_private_segment_fixed_size 0
		.amdhsa_kernarg_size 128
		.amdhsa_user_sgpr_count 15
		.amdhsa_user_sgpr_dispatch_ptr 0
		.amdhsa_user_sgpr_queue_ptr 0
		.amdhsa_user_sgpr_kernarg_segment_ptr 1
		.amdhsa_user_sgpr_dispatch_id 0
		.amdhsa_user_sgpr_private_segment_size 0
		.amdhsa_wavefront_size32 1
		.amdhsa_uses_dynamic_stack 0
		.amdhsa_enable_private_segment 0
		.amdhsa_system_sgpr_workgroup_id_x 1
		.amdhsa_system_sgpr_workgroup_id_y 0
		.amdhsa_system_sgpr_workgroup_id_z 0
		.amdhsa_system_sgpr_workgroup_info 0
		.amdhsa_system_vgpr_workitem_id 0
		.amdhsa_next_free_vgpr 25
		.amdhsa_next_free_sgpr 34
		.amdhsa_reserve_vcc 1
		.amdhsa_float_round_mode_32 0
		.amdhsa_float_round_mode_16_64 0
		.amdhsa_float_denorm_mode_32 3
		.amdhsa_float_denorm_mode_16_64 3
		.amdhsa_dx10_clamp 1
		.amdhsa_ieee_mode 1
		.amdhsa_fp16_overflow 0
		.amdhsa_workgroup_processor_mode 1
		.amdhsa_memory_ordered 1
		.amdhsa_forward_progress 0
		.amdhsa_shared_vgpr_count 0
		.amdhsa_exception_fp_ieee_invalid_op 0
		.amdhsa_exception_fp_denorm_src 0
		.amdhsa_exception_fp_ieee_div_zero 0
		.amdhsa_exception_fp_ieee_overflow 0
		.amdhsa_exception_fp_ieee_underflow 0
		.amdhsa_exception_fp_ieee_inexact 0
		.amdhsa_exception_int_div_zero 0
	.end_amdhsa_kernel
	.section	.text._ZN9rocsparseL16kernel_calculateILi1024ELi32ELb0EfiiEEvT4_T3_PKS2_S4_PKS1_PKT2_21rocsparse_index_base_S4_S4_S6_S4_S4_S6_S4_PS7_PNS_15floating_traitsIS7_E6data_tEPKSE_,"axG",@progbits,_ZN9rocsparseL16kernel_calculateILi1024ELi32ELb0EfiiEEvT4_T3_PKS2_S4_PKS1_PKT2_21rocsparse_index_base_S4_S4_S6_S4_S4_S6_S4_PS7_PNS_15floating_traitsIS7_E6data_tEPKSE_,comdat
.Lfunc_end14:
	.size	_ZN9rocsparseL16kernel_calculateILi1024ELi32ELb0EfiiEEvT4_T3_PKS2_S4_PKS1_PKT2_21rocsparse_index_base_S4_S4_S6_S4_S4_S6_S4_PS7_PNS_15floating_traitsIS7_E6data_tEPKSE_, .Lfunc_end14-_ZN9rocsparseL16kernel_calculateILi1024ELi32ELb0EfiiEEvT4_T3_PKS2_S4_PKS1_PKT2_21rocsparse_index_base_S4_S4_S6_S4_S4_S6_S4_PS7_PNS_15floating_traitsIS7_E6data_tEPKSE_
                                        ; -- End function
	.section	.AMDGPU.csdata,"",@progbits
; Kernel info:
; codeLenInByte = 1044
; NumSgprs: 36
; NumVgprs: 25
; ScratchSize: 0
; MemoryBound: 0
; FloatMode: 240
; IeeeMode: 1
; LDSByteSize: 0 bytes/workgroup (compile time only)
; SGPRBlocks: 4
; VGPRBlocks: 3
; NumSGPRsForWavesPerEU: 36
; NumVGPRsForWavesPerEU: 25
; Occupancy: 16
; WaveLimiterHint : 1
; COMPUTE_PGM_RSRC2:SCRATCH_EN: 0
; COMPUTE_PGM_RSRC2:USER_SGPR: 15
; COMPUTE_PGM_RSRC2:TRAP_HANDLER: 0
; COMPUTE_PGM_RSRC2:TGID_X_EN: 1
; COMPUTE_PGM_RSRC2:TGID_Y_EN: 0
; COMPUTE_PGM_RSRC2:TGID_Z_EN: 0
; COMPUTE_PGM_RSRC2:TIDIG_COMP_CNT: 0
	.section	.text._ZN9rocsparseL16kernel_calculateILi1024ELi64ELb0EfiiEEvT4_T3_PKS2_S4_PKS1_PKT2_21rocsparse_index_base_S4_S4_S6_S4_S4_S6_S4_PS7_PNS_15floating_traitsIS7_E6data_tEPKSE_,"axG",@progbits,_ZN9rocsparseL16kernel_calculateILi1024ELi64ELb0EfiiEEvT4_T3_PKS2_S4_PKS1_PKT2_21rocsparse_index_base_S4_S4_S6_S4_S4_S6_S4_PS7_PNS_15floating_traitsIS7_E6data_tEPKSE_,comdat
	.globl	_ZN9rocsparseL16kernel_calculateILi1024ELi64ELb0EfiiEEvT4_T3_PKS2_S4_PKS1_PKT2_21rocsparse_index_base_S4_S4_S6_S4_S4_S6_S4_PS7_PNS_15floating_traitsIS7_E6data_tEPKSE_ ; -- Begin function _ZN9rocsparseL16kernel_calculateILi1024ELi64ELb0EfiiEEvT4_T3_PKS2_S4_PKS1_PKT2_21rocsparse_index_base_S4_S4_S6_S4_S4_S6_S4_PS7_PNS_15floating_traitsIS7_E6data_tEPKSE_
	.p2align	8
	.type	_ZN9rocsparseL16kernel_calculateILi1024ELi64ELb0EfiiEEvT4_T3_PKS2_S4_PKS1_PKT2_21rocsparse_index_base_S4_S4_S6_S4_S4_S6_S4_PS7_PNS_15floating_traitsIS7_E6data_tEPKSE_,@function
_ZN9rocsparseL16kernel_calculateILi1024ELi64ELb0EfiiEEvT4_T3_PKS2_S4_PKS1_PKT2_21rocsparse_index_base_S4_S4_S6_S4_S4_S6_S4_PS7_PNS_15floating_traitsIS7_E6data_tEPKSE_: ; @_ZN9rocsparseL16kernel_calculateILi1024ELi64ELb0EfiiEEvT4_T3_PKS2_S4_PKS1_PKT2_21rocsparse_index_base_S4_S4_S6_S4_S4_S6_S4_PS7_PNS_15floating_traitsIS7_E6data_tEPKSE_
; %bb.0:
	s_load_b32 s2, s[0:1], 0x0
	v_lshrrev_b32_e32 v1, 6, v0
	s_mov_b32 s3, exec_lo
	s_delay_alu instid0(VALU_DEP_1) | instskip(SKIP_1) | instid1(VALU_DEP_1)
	v_lshl_or_b32 v12, s15, 10, v1
	s_waitcnt lgkmcnt(0)
	v_cmpx_gt_i32_e64 s2, v12
	s_cbranch_execz .LBB15_15
; %bb.1:
	s_clause 0x3
	s_load_b32 s3, s[0:1], 0x28
	s_load_b256 s[4:11], s[0:1], 0x50
	s_load_b256 s[12:19], s[0:1], 0x30
	;; [unrolled: 1-line block ×3, first 2 shown]
	v_and_b32_e32 v0, 63, v0
	s_mov_b32 s28, 0
	s_waitcnt lgkmcnt(0)
	s_delay_alu instid0(VALU_DEP_1)
	v_subrev_nc_u32_e32 v13, s3, v0
	s_branch .LBB15_3
.LBB15_2:                               ;   in Loop: Header=BB15_3 Depth=1
	s_or_b32 exec_lo, exec_lo, s29
	s_add_i32 s28, s28, 1
	s_delay_alu instid0(SALU_CYCLE_1)
	s_cmp_lg_u32 s28, 64
	s_cbranch_scc0 .LBB15_15
.LBB15_3:                               ; =>This Loop Header: Depth=1
                                        ;     Child Loop BB15_7 Depth 2
                                        ;       Child Loop BB15_10 Depth 3
	v_lshl_add_u32 v0, s28, 4, v12
	s_mov_b32 s29, exec_lo
	s_delay_alu instid0(VALU_DEP_1)
	v_cmpx_gt_i32_e64 s2, v0
	s_cbranch_execz .LBB15_2
; %bb.4:                                ;   in Loop: Header=BB15_3 Depth=1
	v_ashrrev_i32_e32 v1, 31, v0
	s_delay_alu instid0(VALU_DEP_1) | instskip(NEXT) | instid1(VALU_DEP_1)
	v_lshlrev_b64 v[2:3], 2, v[0:1]
	v_add_co_u32 v4, vcc_lo, s22, v2
	s_delay_alu instid0(VALU_DEP_2)
	v_add_co_ci_u32_e32 v5, vcc_lo, s23, v3, vcc_lo
	v_add_co_u32 v6, vcc_lo, s20, v2
	v_add_co_ci_u32_e32 v7, vcc_lo, s21, v3, vcc_lo
	global_load_b32 v1, v[4:5], off
	global_load_b32 v4, v[6:7], off
	s_waitcnt vmcnt(1)
	v_subrev_nc_u32_e32 v14, s3, v1
	s_waitcnt vmcnt(0)
	v_add_nc_u32_e32 v1, v13, v4
	s_delay_alu instid0(VALU_DEP_1)
	v_cmp_lt_i32_e32 vcc_lo, v1, v14
	s_and_b32 exec_lo, exec_lo, vcc_lo
	s_cbranch_execz .LBB15_2
; %bb.5:                                ;   in Loop: Header=BB15_3 Depth=1
	v_add_co_u32 v4, vcc_lo, s14, v2
	v_add_co_ci_u32_e32 v5, vcc_lo, s15, v3, vcc_lo
	v_add_co_u32 v2, vcc_lo, s12, v2
	v_add_co_ci_u32_e32 v3, vcc_lo, s13, v3, vcc_lo
	s_mov_b32 s30, 0
	global_load_b32 v4, v[4:5], off
	global_load_b32 v2, v[2:3], off
	s_waitcnt vmcnt(1)
	v_subrev_nc_u32_e32 v15, s3, v4
	s_waitcnt vmcnt(0)
	v_cmp_lt_i32_e64 s0, v2, v4
	v_subrev_nc_u32_e32 v16, s3, v2
	s_branch .LBB15_7
.LBB15_6:                               ;   in Loop: Header=BB15_7 Depth=2
	s_or_b32 exec_lo, exec_lo, s1
	v_add_nc_u32_e32 v1, 64, v1
	s_delay_alu instid0(VALU_DEP_1) | instskip(SKIP_1) | instid1(SALU_CYCLE_1)
	v_cmp_ge_i32_e32 vcc_lo, v1, v14
	s_or_b32 s30, vcc_lo, s30
	s_and_not1_b32 exec_lo, exec_lo, s30
	s_cbranch_execz .LBB15_2
.LBB15_7:                               ;   Parent Loop BB15_3 Depth=1
                                        ; =>  This Loop Header: Depth=2
                                        ;       Child Loop BB15_10 Depth 3
	v_ashrrev_i32_e32 v2, 31, v1
	s_delay_alu instid0(VALU_DEP_1) | instskip(NEXT) | instid1(VALU_DEP_1)
	v_lshlrev_b64 v[2:3], 2, v[1:2]
	v_add_co_u32 v4, vcc_lo, s24, v2
	s_delay_alu instid0(VALU_DEP_2) | instskip(SKIP_3) | instid1(VALU_DEP_1)
	v_add_co_ci_u32_e32 v5, vcc_lo, s25, v3, vcc_lo
	global_load_b32 v4, v[4:5], off
	s_waitcnt vmcnt(0)
	v_subrev_nc_u32_e32 v4, s3, v4
	v_ashrrev_i32_e32 v5, 31, v4
	s_delay_alu instid0(VALU_DEP_1) | instskip(NEXT) | instid1(VALU_DEP_1)
	v_lshlrev_b64 v[5:6], 2, v[4:5]
	v_add_co_u32 v7, vcc_lo, s14, v5
	s_delay_alu instid0(VALU_DEP_2)
	v_add_co_ci_u32_e32 v8, vcc_lo, s15, v6, vcc_lo
	v_add_co_u32 v9, vcc_lo, s4, v5
	v_add_co_ci_u32_e32 v10, vcc_lo, s5, v6, vcc_lo
	global_load_b32 v7, v[7:8], off
	v_add_co_u32 v17, vcc_lo, s18, v5
	v_add_co_ci_u32_e32 v18, vcc_lo, s19, v6, vcc_lo
	v_add_co_u32 v19, vcc_lo, s26, v2
	v_add_co_ci_u32_e32 v20, vcc_lo, s27, v3, vcc_lo
	global_load_b32 v5, v[9:10], off
	global_load_b32 v6, v[17:18], off
	s_waitcnt vmcnt(2)
	v_subrev_nc_u32_e32 v7, s3, v7
	s_delay_alu instid0(VALU_DEP_1) | instskip(NEXT) | instid1(VALU_DEP_1)
	v_ashrrev_i32_e32 v8, 31, v7
	v_lshlrev_b64 v[7:8], 2, v[7:8]
	s_delay_alu instid0(VALU_DEP_1) | instskip(NEXT) | instid1(VALU_DEP_2)
	v_add_co_u32 v7, vcc_lo, s10, v7
	v_add_co_ci_u32_e32 v8, vcc_lo, s11, v8, vcc_lo
	s_waitcnt vmcnt(0)
	v_cmp_lt_i32_e32 vcc_lo, v6, v5
	global_load_b32 v18, v[19:20], off
	global_load_b32 v17, v[7:8], off
	v_mov_b32_e32 v19, 0
	s_and_b32 s1, s0, vcc_lo
	s_delay_alu instid0(SALU_CYCLE_1)
	s_and_saveexec_b32 s31, s1
	s_cbranch_execz .LBB15_13
; %bb.8:                                ;   in Loop: Header=BB15_7 Depth=2
	v_subrev_nc_u32_e32 v20, s3, v5
	v_subrev_nc_u32_e32 v5, s3, v6
	v_mov_b32_e32 v19, 0
	v_mov_b32_e32 v7, v16
	s_mov_b32 s33, 0
	s_branch .LBB15_10
.LBB15_9:                               ;   in Loop: Header=BB15_10 Depth=3
	s_or_b32 exec_lo, exec_lo, s1
	v_cmp_le_i32_e32 vcc_lo, v6, v21
	v_add_co_ci_u32_e32 v7, vcc_lo, 0, v7, vcc_lo
	v_cmp_ge_i32_e32 vcc_lo, v6, v21
	v_add_co_ci_u32_e32 v5, vcc_lo, 0, v5, vcc_lo
	s_delay_alu instid0(VALU_DEP_3) | instskip(NEXT) | instid1(VALU_DEP_2)
	v_cmp_ge_i32_e32 vcc_lo, v7, v15
	v_cmp_ge_i32_e64 s1, v5, v20
	s_delay_alu instid0(VALU_DEP_1) | instskip(NEXT) | instid1(SALU_CYCLE_1)
	s_or_b32 s1, vcc_lo, s1
	s_and_b32 s1, exec_lo, s1
	s_delay_alu instid0(SALU_CYCLE_1) | instskip(NEXT) | instid1(SALU_CYCLE_1)
	s_or_b32 s33, s1, s33
	s_and_not1_b32 exec_lo, exec_lo, s33
	s_cbranch_execz .LBB15_12
.LBB15_10:                              ;   Parent Loop BB15_3 Depth=1
                                        ;     Parent Loop BB15_7 Depth=2
                                        ; =>    This Inner Loop Header: Depth=3
	s_delay_alu instid0(VALU_DEP_1) | instskip(SKIP_2) | instid1(VALU_DEP_2)
	v_ashrrev_i32_e32 v8, 31, v7
	v_ashrrev_i32_e32 v6, 31, v5
	s_mov_b32 s1, exec_lo
	v_lshlrev_b64 v[8:9], 2, v[7:8]
	s_delay_alu instid0(VALU_DEP_2) | instskip(NEXT) | instid1(VALU_DEP_2)
	v_lshlrev_b64 v[10:11], 2, v[5:6]
	v_add_co_u32 v21, vcc_lo, s16, v8
	s_delay_alu instid0(VALU_DEP_3) | instskip(NEXT) | instid1(VALU_DEP_3)
	v_add_co_ci_u32_e32 v22, vcc_lo, s17, v9, vcc_lo
	v_add_co_u32 v23, vcc_lo, s6, v10
	s_delay_alu instid0(VALU_DEP_4)
	v_add_co_ci_u32_e32 v24, vcc_lo, s7, v11, vcc_lo
	global_load_b32 v6, v[21:22], off
	global_load_b32 v21, v[23:24], off
	s_waitcnt vmcnt(0)
	v_cmpx_eq_u32_e64 v6, v21
	s_cbranch_execz .LBB15_9
; %bb.11:                               ;   in Loop: Header=BB15_10 Depth=3
	v_add_co_u32 v10, vcc_lo, s8, v10
	v_add_co_ci_u32_e32 v11, vcc_lo, s9, v11, vcc_lo
	v_add_co_u32 v8, vcc_lo, s10, v8
	v_add_co_ci_u32_e32 v9, vcc_lo, s11, v9, vcc_lo
	global_load_b32 v10, v[10:11], off
	s_waitcnt vmcnt(0)
	v_ashrrev_i32_e32 v11, 31, v10
	s_delay_alu instid0(VALU_DEP_1) | instskip(NEXT) | instid1(VALU_DEP_1)
	v_lshlrev_b64 v[10:11], 2, v[10:11]
	v_add_co_u32 v10, vcc_lo, s10, v10
	s_delay_alu instid0(VALU_DEP_2)
	v_add_co_ci_u32_e32 v11, vcc_lo, s11, v11, vcc_lo
	s_clause 0x1
	global_load_b32 v8, v[8:9], off
	global_load_b32 v9, v[10:11], off
	s_waitcnt vmcnt(0)
	v_fmac_f32_e32 v19, v8, v9
	s_branch .LBB15_9
.LBB15_12:                              ;   in Loop: Header=BB15_7 Depth=2
	s_or_b32 exec_lo, exec_lo, s33
.LBB15_13:                              ;   in Loop: Header=BB15_7 Depth=2
	s_delay_alu instid0(SALU_CYCLE_1) | instskip(SKIP_3) | instid1(VALU_DEP_1)
	s_or_b32 exec_lo, exec_lo, s31
	s_waitcnt vmcnt(1)
	v_sub_f32_e32 v5, v18, v19
	s_waitcnt vmcnt(0)
	v_div_scale_f32 v6, null, v17, v17, v5
	s_delay_alu instid0(VALU_DEP_1) | instskip(SKIP_2) | instid1(VALU_DEP_1)
	v_rcp_f32_e32 v7, v6
	s_waitcnt_depctr 0xfff
	v_fma_f32 v8, -v6, v7, 1.0
	v_fmac_f32_e32 v7, v8, v7
	v_div_scale_f32 v8, vcc_lo, v5, v17, v5
	s_delay_alu instid0(VALU_DEP_1) | instskip(NEXT) | instid1(VALU_DEP_1)
	v_mul_f32_e32 v9, v8, v7
	v_fma_f32 v10, -v6, v9, v8
	s_delay_alu instid0(VALU_DEP_1) | instskip(NEXT) | instid1(VALU_DEP_1)
	v_fmac_f32_e32 v9, v10, v7
	v_fma_f32 v6, -v6, v9, v8
	s_delay_alu instid0(VALU_DEP_1) | instskip(SKIP_1) | instid1(VALU_DEP_2)
	v_div_fmas_f32 v6, v6, v7, v9
	v_cmp_gt_i32_e32 vcc_lo, v0, v4
	v_div_fixup_f32 v6, v6, v17, v5
	s_delay_alu instid0(VALU_DEP_1) | instskip(NEXT) | instid1(VALU_DEP_1)
	v_cndmask_b32_e32 v4, v5, v6, vcc_lo
	v_cmp_class_f32_e64 s31, v4, 0x1f8
	s_delay_alu instid0(VALU_DEP_1)
	s_and_saveexec_b32 s1, s31
	s_cbranch_execz .LBB15_6
; %bb.14:                               ;   in Loop: Header=BB15_7 Depth=2
	v_add_co_u32 v2, vcc_lo, s10, v2
	v_add_co_ci_u32_e32 v3, vcc_lo, s11, v3, vcc_lo
	global_store_b32 v[2:3], v4, off
	s_branch .LBB15_6
.LBB15_15:
	s_nop 0
	s_sendmsg sendmsg(MSG_DEALLOC_VGPRS)
	s_endpgm
	.section	.rodata,"a",@progbits
	.p2align	6, 0x0
	.amdhsa_kernel _ZN9rocsparseL16kernel_calculateILi1024ELi64ELb0EfiiEEvT4_T3_PKS2_S4_PKS1_PKT2_21rocsparse_index_base_S4_S4_S6_S4_S4_S6_S4_PS7_PNS_15floating_traitsIS7_E6data_tEPKSE_
		.amdhsa_group_segment_fixed_size 0
		.amdhsa_private_segment_fixed_size 0
		.amdhsa_kernarg_size 128
		.amdhsa_user_sgpr_count 15
		.amdhsa_user_sgpr_dispatch_ptr 0
		.amdhsa_user_sgpr_queue_ptr 0
		.amdhsa_user_sgpr_kernarg_segment_ptr 1
		.amdhsa_user_sgpr_dispatch_id 0
		.amdhsa_user_sgpr_private_segment_size 0
		.amdhsa_wavefront_size32 1
		.amdhsa_uses_dynamic_stack 0
		.amdhsa_enable_private_segment 0
		.amdhsa_system_sgpr_workgroup_id_x 1
		.amdhsa_system_sgpr_workgroup_id_y 0
		.amdhsa_system_sgpr_workgroup_id_z 0
		.amdhsa_system_sgpr_workgroup_info 0
		.amdhsa_system_vgpr_workitem_id 0
		.amdhsa_next_free_vgpr 25
		.amdhsa_next_free_sgpr 34
		.amdhsa_reserve_vcc 1
		.amdhsa_float_round_mode_32 0
		.amdhsa_float_round_mode_16_64 0
		.amdhsa_float_denorm_mode_32 3
		.amdhsa_float_denorm_mode_16_64 3
		.amdhsa_dx10_clamp 1
		.amdhsa_ieee_mode 1
		.amdhsa_fp16_overflow 0
		.amdhsa_workgroup_processor_mode 1
		.amdhsa_memory_ordered 1
		.amdhsa_forward_progress 0
		.amdhsa_shared_vgpr_count 0
		.amdhsa_exception_fp_ieee_invalid_op 0
		.amdhsa_exception_fp_denorm_src 0
		.amdhsa_exception_fp_ieee_div_zero 0
		.amdhsa_exception_fp_ieee_overflow 0
		.amdhsa_exception_fp_ieee_underflow 0
		.amdhsa_exception_fp_ieee_inexact 0
		.amdhsa_exception_int_div_zero 0
	.end_amdhsa_kernel
	.section	.text._ZN9rocsparseL16kernel_calculateILi1024ELi64ELb0EfiiEEvT4_T3_PKS2_S4_PKS1_PKT2_21rocsparse_index_base_S4_S4_S6_S4_S4_S6_S4_PS7_PNS_15floating_traitsIS7_E6data_tEPKSE_,"axG",@progbits,_ZN9rocsparseL16kernel_calculateILi1024ELi64ELb0EfiiEEvT4_T3_PKS2_S4_PKS1_PKT2_21rocsparse_index_base_S4_S4_S6_S4_S4_S6_S4_PS7_PNS_15floating_traitsIS7_E6data_tEPKSE_,comdat
.Lfunc_end15:
	.size	_ZN9rocsparseL16kernel_calculateILi1024ELi64ELb0EfiiEEvT4_T3_PKS2_S4_PKS1_PKT2_21rocsparse_index_base_S4_S4_S6_S4_S4_S6_S4_PS7_PNS_15floating_traitsIS7_E6data_tEPKSE_, .Lfunc_end15-_ZN9rocsparseL16kernel_calculateILi1024ELi64ELb0EfiiEEvT4_T3_PKS2_S4_PKS1_PKT2_21rocsparse_index_base_S4_S4_S6_S4_S4_S6_S4_PS7_PNS_15floating_traitsIS7_E6data_tEPKSE_
                                        ; -- End function
	.section	.AMDGPU.csdata,"",@progbits
; Kernel info:
; codeLenInByte = 1044
; NumSgprs: 36
; NumVgprs: 25
; ScratchSize: 0
; MemoryBound: 0
; FloatMode: 240
; IeeeMode: 1
; LDSByteSize: 0 bytes/workgroup (compile time only)
; SGPRBlocks: 4
; VGPRBlocks: 3
; NumSGPRsForWavesPerEU: 36
; NumVGPRsForWavesPerEU: 25
; Occupancy: 16
; WaveLimiterHint : 1
; COMPUTE_PGM_RSRC2:SCRATCH_EN: 0
; COMPUTE_PGM_RSRC2:USER_SGPR: 15
; COMPUTE_PGM_RSRC2:TRAP_HANDLER: 0
; COMPUTE_PGM_RSRC2:TGID_X_EN: 1
; COMPUTE_PGM_RSRC2:TGID_Y_EN: 0
; COMPUTE_PGM_RSRC2:TGID_Z_EN: 0
; COMPUTE_PGM_RSRC2:TIDIG_COMP_CNT: 0
	.section	.text._ZN9rocsparseL20kernel_calculate_cooILi1024ELi32ELb0EfiiEEvT4_T3_PKS1_S4_PKT2_21rocsparse_index_base_PKS2_SA_S4_SA_SA_S4_SA_PS5_PNS_15floating_traitsIS5_E6data_tEPKSE_,"axG",@progbits,_ZN9rocsparseL20kernel_calculate_cooILi1024ELi32ELb0EfiiEEvT4_T3_PKS1_S4_PKT2_21rocsparse_index_base_PKS2_SA_S4_SA_SA_S4_SA_PS5_PNS_15floating_traitsIS5_E6data_tEPKSE_,comdat
	.globl	_ZN9rocsparseL20kernel_calculate_cooILi1024ELi32ELb0EfiiEEvT4_T3_PKS1_S4_PKT2_21rocsparse_index_base_PKS2_SA_S4_SA_SA_S4_SA_PS5_PNS_15floating_traitsIS5_E6data_tEPKSE_ ; -- Begin function _ZN9rocsparseL20kernel_calculate_cooILi1024ELi32ELb0EfiiEEvT4_T3_PKS1_S4_PKT2_21rocsparse_index_base_PKS2_SA_S4_SA_SA_S4_SA_PS5_PNS_15floating_traitsIS5_E6data_tEPKSE_
	.p2align	8
	.type	_ZN9rocsparseL20kernel_calculate_cooILi1024ELi32ELb0EfiiEEvT4_T3_PKS1_S4_PKT2_21rocsparse_index_base_PKS2_SA_S4_SA_SA_S4_SA_PS5_PNS_15floating_traitsIS5_E6data_tEPKSE_,@function
_ZN9rocsparseL20kernel_calculate_cooILi1024ELi32ELb0EfiiEEvT4_T3_PKS1_S4_PKT2_21rocsparse_index_base_PKS2_SA_S4_SA_SA_S4_SA_PS5_PNS_15floating_traitsIS5_E6data_tEPKSE_: ; @_ZN9rocsparseL20kernel_calculate_cooILi1024ELi32ELb0EfiiEEvT4_T3_PKS1_S4_PKT2_21rocsparse_index_base_PKS2_SA_S4_SA_SA_S4_SA_PS5_PNS_15floating_traitsIS5_E6data_tEPKSE_
; %bb.0:
	s_load_b32 s24, s[0:1], 0x4
	v_lshl_or_b32 v0, s15, 16, v0
	s_mov_b32 s2, exec_lo
	s_waitcnt lgkmcnt(0)
	s_delay_alu instid0(VALU_DEP_1)
	v_cmpx_gt_i32_e64 s24, v0
	s_cbranch_execz .LBB16_12
; %bb.1:
	s_clause 0x4
	s_load_b256 s[4:11], s[0:1], 0x48
	s_load_b128 s[20:23], s[0:1], 0x8
	s_load_b64 s[2:3], s[0:1], 0x18
	s_load_b256 s[12:19], s[0:1], 0x28
	s_load_b32 s1, s[0:1], 0x20
	s_mov_b32 s25, 0
	s_branch .LBB16_3
.LBB16_2:                               ;   in Loop: Header=BB16_3 Depth=1
	s_or_b32 exec_lo, exec_lo, s26
	v_add_nc_u32_e32 v0, 0x400, v0
	s_add_i32 s25, s25, 1
	s_delay_alu instid0(SALU_CYCLE_1)
	s_cmp_lg_u32 s25, 64
	s_cbranch_scc0 .LBB16_12
.LBB16_3:                               ; =>This Loop Header: Depth=1
                                        ;     Child Loop BB16_7 Depth 2
	s_mov_b32 s26, exec_lo
	v_cmpx_gt_i32_e64 s24, v0
	s_cbranch_execz .LBB16_2
; %bb.4:                                ;   in Loop: Header=BB16_3 Depth=1
	v_ashrrev_i32_e32 v1, 31, v0
	s_delay_alu instid0(VALU_DEP_1) | instskip(SKIP_1) | instid1(VALU_DEP_1)
	v_lshlrev_b64 v[1:2], 2, v[0:1]
	s_waitcnt lgkmcnt(0)
	v_add_co_u32 v3, vcc_lo, s22, v1
	s_delay_alu instid0(VALU_DEP_2)
	v_add_co_ci_u32_e32 v4, vcc_lo, s23, v2, vcc_lo
	global_load_b32 v10, v[3:4], off
	v_add_co_u32 v3, vcc_lo, s20, v1
	v_add_co_ci_u32_e32 v4, vcc_lo, s21, v2, vcc_lo
	global_load_b32 v11, v[3:4], off
	s_waitcnt vmcnt(1)
	v_subrev_nc_u32_e32 v3, s1, v10
	s_delay_alu instid0(VALU_DEP_1) | instskip(NEXT) | instid1(VALU_DEP_1)
	v_ashrrev_i32_e32 v4, 31, v3
	v_lshlrev_b64 v[4:5], 2, v[3:4]
	s_delay_alu instid0(VALU_DEP_1) | instskip(NEXT) | instid1(VALU_DEP_2)
	v_add_co_u32 v6, vcc_lo, s14, v4
	v_add_co_ci_u32_e32 v7, vcc_lo, s15, v5, vcc_lo
	global_load_b32 v12, v[6:7], off
	s_waitcnt vmcnt(1)
	v_subrev_nc_u32_e32 v6, s1, v11
	s_delay_alu instid0(VALU_DEP_1) | instskip(NEXT) | instid1(VALU_DEP_1)
	v_ashrrev_i32_e32 v7, 31, v6
	v_lshlrev_b64 v[6:7], 2, v[6:7]
	s_delay_alu instid0(VALU_DEP_1) | instskip(NEXT) | instid1(VALU_DEP_2)
	v_add_co_u32 v8, vcc_lo, s14, v6
	v_add_co_ci_u32_e32 v9, vcc_lo, s15, v7, vcc_lo
	global_load_b32 v3, v[8:9], off
	v_add_co_u32 v8, vcc_lo, s4, v4
	v_add_co_ci_u32_e32 v9, vcc_lo, s5, v5, vcc_lo
	v_add_co_u32 v6, vcc_lo, s12, v6
	v_add_co_ci_u32_e32 v7, vcc_lo, s13, v7, vcc_lo
	;; [unrolled: 2-line block ×4, first 2 shown]
	global_load_b32 v5, v[8:9], off
	global_load_b32 v4, v[6:7], off
	;; [unrolled: 1-line block ×3, first 2 shown]
	v_mov_b32_e32 v14, 0
	s_waitcnt vmcnt(4)
	v_subrev_nc_u32_e32 v12, s1, v12
	s_delay_alu instid0(VALU_DEP_1) | instskip(NEXT) | instid1(VALU_DEP_1)
	v_ashrrev_i32_e32 v13, 31, v12
	v_lshlrev_b64 v[12:13], 2, v[12:13]
	s_delay_alu instid0(VALU_DEP_1) | instskip(NEXT) | instid1(VALU_DEP_2)
	v_add_co_u32 v7, vcc_lo, s10, v12
	v_add_co_ci_u32_e32 v8, vcc_lo, s11, v13, vcc_lo
	global_load_b32 v13, v[16:17], off
	global_load_b32 v12, v[7:8], off
	s_waitcnt vmcnt(3)
	v_cmp_lt_i32_e32 vcc_lo, v4, v3
	s_waitcnt vmcnt(2)
	v_cmp_lt_i32_e64 s0, v6, v5
	s_delay_alu instid0(VALU_DEP_1) | instskip(NEXT) | instid1(SALU_CYCLE_1)
	s_and_b32 s0, vcc_lo, s0
	s_and_saveexec_b32 s27, s0
	s_cbranch_execz .LBB16_10
; %bb.5:                                ;   in Loop: Header=BB16_3 Depth=1
	v_subrev_nc_u32_e32 v15, s1, v5
	v_subrev_nc_u32_e32 v16, s1, v3
	;; [unrolled: 1-line block ×4, first 2 shown]
	v_mov_b32_e32 v14, 0
	s_mov_b32 s28, 0
	s_branch .LBB16_7
.LBB16_6:                               ;   in Loop: Header=BB16_7 Depth=2
	s_or_b32 exec_lo, exec_lo, s0
	v_cmp_le_i32_e32 vcc_lo, v4, v17
	v_add_co_ci_u32_e32 v5, vcc_lo, 0, v5, vcc_lo
	v_cmp_ge_i32_e32 vcc_lo, v4, v17
	v_add_co_ci_u32_e32 v3, vcc_lo, 0, v3, vcc_lo
	s_delay_alu instid0(VALU_DEP_3) | instskip(NEXT) | instid1(VALU_DEP_2)
	v_cmp_ge_i32_e32 vcc_lo, v5, v16
	v_cmp_ge_i32_e64 s0, v3, v15
	s_delay_alu instid0(VALU_DEP_1) | instskip(NEXT) | instid1(SALU_CYCLE_1)
	s_or_b32 s0, vcc_lo, s0
	s_and_b32 s0, exec_lo, s0
	s_delay_alu instid0(SALU_CYCLE_1) | instskip(NEXT) | instid1(SALU_CYCLE_1)
	s_or_b32 s28, s0, s28
	s_and_not1_b32 exec_lo, exec_lo, s28
	s_cbranch_execz .LBB16_9
.LBB16_7:                               ;   Parent Loop BB16_3 Depth=1
                                        ; =>  This Inner Loop Header: Depth=2
	s_delay_alu instid0(VALU_DEP_2) | instskip(SKIP_2) | instid1(VALU_DEP_2)
	v_ashrrev_i32_e32 v6, 31, v5
	v_ashrrev_i32_e32 v4, 31, v3
	s_mov_b32 s0, exec_lo
	v_lshlrev_b64 v[6:7], 2, v[5:6]
	s_delay_alu instid0(VALU_DEP_2) | instskip(NEXT) | instid1(VALU_DEP_2)
	v_lshlrev_b64 v[8:9], 2, v[3:4]
	v_add_co_u32 v17, vcc_lo, s16, v6
	s_delay_alu instid0(VALU_DEP_3) | instskip(NEXT) | instid1(VALU_DEP_3)
	v_add_co_ci_u32_e32 v18, vcc_lo, s17, v7, vcc_lo
	v_add_co_u32 v19, vcc_lo, s6, v8
	s_delay_alu instid0(VALU_DEP_4)
	v_add_co_ci_u32_e32 v20, vcc_lo, s7, v9, vcc_lo
	global_load_b32 v4, v[17:18], off
	global_load_b32 v17, v[19:20], off
	s_waitcnt vmcnt(0)
	v_cmpx_eq_u32_e64 v4, v17
	s_cbranch_execz .LBB16_6
; %bb.8:                                ;   in Loop: Header=BB16_7 Depth=2
	v_add_co_u32 v8, vcc_lo, s8, v8
	v_add_co_ci_u32_e32 v9, vcc_lo, s9, v9, vcc_lo
	v_add_co_u32 v6, vcc_lo, s10, v6
	v_add_co_ci_u32_e32 v7, vcc_lo, s11, v7, vcc_lo
	global_load_b32 v8, v[8:9], off
	s_waitcnt vmcnt(0)
	v_ashrrev_i32_e32 v9, 31, v8
	s_delay_alu instid0(VALU_DEP_1) | instskip(NEXT) | instid1(VALU_DEP_1)
	v_lshlrev_b64 v[8:9], 2, v[8:9]
	v_add_co_u32 v8, vcc_lo, s10, v8
	s_delay_alu instid0(VALU_DEP_2)
	v_add_co_ci_u32_e32 v9, vcc_lo, s11, v9, vcc_lo
	s_clause 0x1
	global_load_b32 v6, v[6:7], off
	global_load_b32 v7, v[8:9], off
	s_waitcnt vmcnt(0)
	v_fmac_f32_e32 v14, v6, v7
	s_branch .LBB16_6
.LBB16_9:                               ;   in Loop: Header=BB16_3 Depth=1
	s_or_b32 exec_lo, exec_lo, s28
.LBB16_10:                              ;   in Loop: Header=BB16_3 Depth=1
	s_delay_alu instid0(SALU_CYCLE_1) | instskip(SKIP_3) | instid1(VALU_DEP_1)
	s_or_b32 exec_lo, exec_lo, s27
	s_waitcnt vmcnt(1)
	v_sub_f32_e32 v3, v13, v14
	s_waitcnt vmcnt(0)
	v_div_scale_f32 v4, null, v12, v12, v3
	s_delay_alu instid0(VALU_DEP_1) | instskip(SKIP_2) | instid1(VALU_DEP_1)
	v_rcp_f32_e32 v5, v4
	s_waitcnt_depctr 0xfff
	v_fma_f32 v6, -v4, v5, 1.0
	v_fmac_f32_e32 v5, v6, v5
	v_div_scale_f32 v6, vcc_lo, v3, v12, v3
	s_delay_alu instid0(VALU_DEP_1) | instskip(NEXT) | instid1(VALU_DEP_1)
	v_mul_f32_e32 v7, v6, v5
	v_fma_f32 v8, -v4, v7, v6
	s_delay_alu instid0(VALU_DEP_1) | instskip(NEXT) | instid1(VALU_DEP_1)
	v_fmac_f32_e32 v7, v8, v5
	v_fma_f32 v4, -v4, v7, v6
	s_delay_alu instid0(VALU_DEP_1) | instskip(SKIP_1) | instid1(VALU_DEP_2)
	v_div_fmas_f32 v4, v4, v5, v7
	v_cmp_gt_i32_e32 vcc_lo, v11, v10
	v_div_fixup_f32 v4, v4, v12, v3
	s_delay_alu instid0(VALU_DEP_1) | instskip(NEXT) | instid1(VALU_DEP_1)
	v_cndmask_b32_e32 v3, v3, v4, vcc_lo
	v_cmp_class_f32_e64 s0, v3, 0x1f8
	s_delay_alu instid0(VALU_DEP_1)
	s_and_b32 exec_lo, exec_lo, s0
	s_cbranch_execz .LBB16_2
; %bb.11:                               ;   in Loop: Header=BB16_3 Depth=1
	v_add_co_u32 v1, vcc_lo, s10, v1
	v_add_co_ci_u32_e32 v2, vcc_lo, s11, v2, vcc_lo
	global_store_b32 v[1:2], v3, off
	s_branch .LBB16_2
.LBB16_12:
	s_nop 0
	s_sendmsg sendmsg(MSG_DEALLOC_VGPRS)
	s_endpgm
	.section	.rodata,"a",@progbits
	.p2align	6, 0x0
	.amdhsa_kernel _ZN9rocsparseL20kernel_calculate_cooILi1024ELi32ELb0EfiiEEvT4_T3_PKS1_S4_PKT2_21rocsparse_index_base_PKS2_SA_S4_SA_SA_S4_SA_PS5_PNS_15floating_traitsIS5_E6data_tEPKSE_
		.amdhsa_group_segment_fixed_size 0
		.amdhsa_private_segment_fixed_size 0
		.amdhsa_kernarg_size 120
		.amdhsa_user_sgpr_count 15
		.amdhsa_user_sgpr_dispatch_ptr 0
		.amdhsa_user_sgpr_queue_ptr 0
		.amdhsa_user_sgpr_kernarg_segment_ptr 1
		.amdhsa_user_sgpr_dispatch_id 0
		.amdhsa_user_sgpr_private_segment_size 0
		.amdhsa_wavefront_size32 1
		.amdhsa_uses_dynamic_stack 0
		.amdhsa_enable_private_segment 0
		.amdhsa_system_sgpr_workgroup_id_x 1
		.amdhsa_system_sgpr_workgroup_id_y 0
		.amdhsa_system_sgpr_workgroup_id_z 0
		.amdhsa_system_sgpr_workgroup_info 0
		.amdhsa_system_vgpr_workitem_id 0
		.amdhsa_next_free_vgpr 21
		.amdhsa_next_free_sgpr 29
		.amdhsa_reserve_vcc 1
		.amdhsa_float_round_mode_32 0
		.amdhsa_float_round_mode_16_64 0
		.amdhsa_float_denorm_mode_32 3
		.amdhsa_float_denorm_mode_16_64 3
		.amdhsa_dx10_clamp 1
		.amdhsa_ieee_mode 1
		.amdhsa_fp16_overflow 0
		.amdhsa_workgroup_processor_mode 1
		.amdhsa_memory_ordered 1
		.amdhsa_forward_progress 0
		.amdhsa_shared_vgpr_count 0
		.amdhsa_exception_fp_ieee_invalid_op 0
		.amdhsa_exception_fp_denorm_src 0
		.amdhsa_exception_fp_ieee_div_zero 0
		.amdhsa_exception_fp_ieee_overflow 0
		.amdhsa_exception_fp_ieee_underflow 0
		.amdhsa_exception_fp_ieee_inexact 0
		.amdhsa_exception_int_div_zero 0
	.end_amdhsa_kernel
	.section	.text._ZN9rocsparseL20kernel_calculate_cooILi1024ELi32ELb0EfiiEEvT4_T3_PKS1_S4_PKT2_21rocsparse_index_base_PKS2_SA_S4_SA_SA_S4_SA_PS5_PNS_15floating_traitsIS5_E6data_tEPKSE_,"axG",@progbits,_ZN9rocsparseL20kernel_calculate_cooILi1024ELi32ELb0EfiiEEvT4_T3_PKS1_S4_PKT2_21rocsparse_index_base_PKS2_SA_S4_SA_SA_S4_SA_PS5_PNS_15floating_traitsIS5_E6data_tEPKSE_,comdat
.Lfunc_end16:
	.size	_ZN9rocsparseL20kernel_calculate_cooILi1024ELi32ELb0EfiiEEvT4_T3_PKS1_S4_PKT2_21rocsparse_index_base_PKS2_SA_S4_SA_SA_S4_SA_PS5_PNS_15floating_traitsIS5_E6data_tEPKSE_, .Lfunc_end16-_ZN9rocsparseL20kernel_calculate_cooILi1024ELi32ELb0EfiiEEvT4_T3_PKS1_S4_PKT2_21rocsparse_index_base_PKS2_SA_S4_SA_SA_S4_SA_PS5_PNS_15floating_traitsIS5_E6data_tEPKSE_
                                        ; -- End function
	.section	.AMDGPU.csdata,"",@progbits
; Kernel info:
; codeLenInByte = 944
; NumSgprs: 31
; NumVgprs: 21
; ScratchSize: 0
; MemoryBound: 0
; FloatMode: 240
; IeeeMode: 1
; LDSByteSize: 0 bytes/workgroup (compile time only)
; SGPRBlocks: 3
; VGPRBlocks: 2
; NumSGPRsForWavesPerEU: 31
; NumVGPRsForWavesPerEU: 21
; Occupancy: 16
; WaveLimiterHint : 1
; COMPUTE_PGM_RSRC2:SCRATCH_EN: 0
; COMPUTE_PGM_RSRC2:USER_SGPR: 15
; COMPUTE_PGM_RSRC2:TRAP_HANDLER: 0
; COMPUTE_PGM_RSRC2:TGID_X_EN: 1
; COMPUTE_PGM_RSRC2:TGID_Y_EN: 0
; COMPUTE_PGM_RSRC2:TGID_Z_EN: 0
; COMPUTE_PGM_RSRC2:TIDIG_COMP_CNT: 0
	.section	.text._ZN9rocsparseL20kernel_calculate_cooILi1024ELi64ELb0EfiiEEvT4_T3_PKS1_S4_PKT2_21rocsparse_index_base_PKS2_SA_S4_SA_SA_S4_SA_PS5_PNS_15floating_traitsIS5_E6data_tEPKSE_,"axG",@progbits,_ZN9rocsparseL20kernel_calculate_cooILi1024ELi64ELb0EfiiEEvT4_T3_PKS1_S4_PKT2_21rocsparse_index_base_PKS2_SA_S4_SA_SA_S4_SA_PS5_PNS_15floating_traitsIS5_E6data_tEPKSE_,comdat
	.globl	_ZN9rocsparseL20kernel_calculate_cooILi1024ELi64ELb0EfiiEEvT4_T3_PKS1_S4_PKT2_21rocsparse_index_base_PKS2_SA_S4_SA_SA_S4_SA_PS5_PNS_15floating_traitsIS5_E6data_tEPKSE_ ; -- Begin function _ZN9rocsparseL20kernel_calculate_cooILi1024ELi64ELb0EfiiEEvT4_T3_PKS1_S4_PKT2_21rocsparse_index_base_PKS2_SA_S4_SA_SA_S4_SA_PS5_PNS_15floating_traitsIS5_E6data_tEPKSE_
	.p2align	8
	.type	_ZN9rocsparseL20kernel_calculate_cooILi1024ELi64ELb0EfiiEEvT4_T3_PKS1_S4_PKT2_21rocsparse_index_base_PKS2_SA_S4_SA_SA_S4_SA_PS5_PNS_15floating_traitsIS5_E6data_tEPKSE_,@function
_ZN9rocsparseL20kernel_calculate_cooILi1024ELi64ELb0EfiiEEvT4_T3_PKS1_S4_PKT2_21rocsparse_index_base_PKS2_SA_S4_SA_SA_S4_SA_PS5_PNS_15floating_traitsIS5_E6data_tEPKSE_: ; @_ZN9rocsparseL20kernel_calculate_cooILi1024ELi64ELb0EfiiEEvT4_T3_PKS1_S4_PKT2_21rocsparse_index_base_PKS2_SA_S4_SA_SA_S4_SA_PS5_PNS_15floating_traitsIS5_E6data_tEPKSE_
; %bb.0:
	s_load_b32 s24, s[0:1], 0x4
	v_lshl_or_b32 v0, s15, 16, v0
	s_mov_b32 s2, exec_lo
	s_waitcnt lgkmcnt(0)
	s_delay_alu instid0(VALU_DEP_1)
	v_cmpx_gt_i32_e64 s24, v0
	s_cbranch_execz .LBB17_12
; %bb.1:
	s_clause 0x4
	s_load_b256 s[4:11], s[0:1], 0x48
	s_load_b128 s[20:23], s[0:1], 0x8
	s_load_b64 s[2:3], s[0:1], 0x18
	s_load_b256 s[12:19], s[0:1], 0x28
	s_load_b32 s1, s[0:1], 0x20
	s_mov_b32 s25, 0
	s_branch .LBB17_3
.LBB17_2:                               ;   in Loop: Header=BB17_3 Depth=1
	s_or_b32 exec_lo, exec_lo, s26
	v_add_nc_u32_e32 v0, 0x400, v0
	s_add_i32 s25, s25, 1
	s_delay_alu instid0(SALU_CYCLE_1)
	s_cmp_lg_u32 s25, 64
	s_cbranch_scc0 .LBB17_12
.LBB17_3:                               ; =>This Loop Header: Depth=1
                                        ;     Child Loop BB17_7 Depth 2
	s_mov_b32 s26, exec_lo
	v_cmpx_gt_i32_e64 s24, v0
	s_cbranch_execz .LBB17_2
; %bb.4:                                ;   in Loop: Header=BB17_3 Depth=1
	v_ashrrev_i32_e32 v1, 31, v0
	s_delay_alu instid0(VALU_DEP_1) | instskip(SKIP_1) | instid1(VALU_DEP_1)
	v_lshlrev_b64 v[1:2], 2, v[0:1]
	s_waitcnt lgkmcnt(0)
	v_add_co_u32 v3, vcc_lo, s22, v1
	s_delay_alu instid0(VALU_DEP_2)
	v_add_co_ci_u32_e32 v4, vcc_lo, s23, v2, vcc_lo
	global_load_b32 v10, v[3:4], off
	v_add_co_u32 v3, vcc_lo, s20, v1
	v_add_co_ci_u32_e32 v4, vcc_lo, s21, v2, vcc_lo
	global_load_b32 v11, v[3:4], off
	s_waitcnt vmcnt(1)
	v_subrev_nc_u32_e32 v3, s1, v10
	s_delay_alu instid0(VALU_DEP_1) | instskip(NEXT) | instid1(VALU_DEP_1)
	v_ashrrev_i32_e32 v4, 31, v3
	v_lshlrev_b64 v[4:5], 2, v[3:4]
	s_delay_alu instid0(VALU_DEP_1) | instskip(NEXT) | instid1(VALU_DEP_2)
	v_add_co_u32 v6, vcc_lo, s14, v4
	v_add_co_ci_u32_e32 v7, vcc_lo, s15, v5, vcc_lo
	global_load_b32 v12, v[6:7], off
	s_waitcnt vmcnt(1)
	v_subrev_nc_u32_e32 v6, s1, v11
	s_delay_alu instid0(VALU_DEP_1) | instskip(NEXT) | instid1(VALU_DEP_1)
	v_ashrrev_i32_e32 v7, 31, v6
	v_lshlrev_b64 v[6:7], 2, v[6:7]
	s_delay_alu instid0(VALU_DEP_1) | instskip(NEXT) | instid1(VALU_DEP_2)
	v_add_co_u32 v8, vcc_lo, s14, v6
	v_add_co_ci_u32_e32 v9, vcc_lo, s15, v7, vcc_lo
	global_load_b32 v3, v[8:9], off
	v_add_co_u32 v8, vcc_lo, s4, v4
	v_add_co_ci_u32_e32 v9, vcc_lo, s5, v5, vcc_lo
	v_add_co_u32 v6, vcc_lo, s12, v6
	v_add_co_ci_u32_e32 v7, vcc_lo, s13, v7, vcc_lo
	;; [unrolled: 2-line block ×4, first 2 shown]
	global_load_b32 v5, v[8:9], off
	global_load_b32 v4, v[6:7], off
	;; [unrolled: 1-line block ×3, first 2 shown]
	v_mov_b32_e32 v14, 0
	s_waitcnt vmcnt(4)
	v_subrev_nc_u32_e32 v12, s1, v12
	s_delay_alu instid0(VALU_DEP_1) | instskip(NEXT) | instid1(VALU_DEP_1)
	v_ashrrev_i32_e32 v13, 31, v12
	v_lshlrev_b64 v[12:13], 2, v[12:13]
	s_delay_alu instid0(VALU_DEP_1) | instskip(NEXT) | instid1(VALU_DEP_2)
	v_add_co_u32 v7, vcc_lo, s10, v12
	v_add_co_ci_u32_e32 v8, vcc_lo, s11, v13, vcc_lo
	global_load_b32 v13, v[16:17], off
	global_load_b32 v12, v[7:8], off
	s_waitcnt vmcnt(3)
	v_cmp_lt_i32_e32 vcc_lo, v4, v3
	s_waitcnt vmcnt(2)
	v_cmp_lt_i32_e64 s0, v6, v5
	s_delay_alu instid0(VALU_DEP_1) | instskip(NEXT) | instid1(SALU_CYCLE_1)
	s_and_b32 s0, vcc_lo, s0
	s_and_saveexec_b32 s27, s0
	s_cbranch_execz .LBB17_10
; %bb.5:                                ;   in Loop: Header=BB17_3 Depth=1
	v_subrev_nc_u32_e32 v15, s1, v5
	v_subrev_nc_u32_e32 v16, s1, v3
	v_subrev_nc_u32_e32 v3, s1, v6
	v_subrev_nc_u32_e32 v5, s1, v4
	v_mov_b32_e32 v14, 0
	s_mov_b32 s28, 0
	s_branch .LBB17_7
.LBB17_6:                               ;   in Loop: Header=BB17_7 Depth=2
	s_or_b32 exec_lo, exec_lo, s0
	v_cmp_le_i32_e32 vcc_lo, v4, v17
	v_add_co_ci_u32_e32 v5, vcc_lo, 0, v5, vcc_lo
	v_cmp_ge_i32_e32 vcc_lo, v4, v17
	v_add_co_ci_u32_e32 v3, vcc_lo, 0, v3, vcc_lo
	s_delay_alu instid0(VALU_DEP_3) | instskip(NEXT) | instid1(VALU_DEP_2)
	v_cmp_ge_i32_e32 vcc_lo, v5, v16
	v_cmp_ge_i32_e64 s0, v3, v15
	s_delay_alu instid0(VALU_DEP_1) | instskip(NEXT) | instid1(SALU_CYCLE_1)
	s_or_b32 s0, vcc_lo, s0
	s_and_b32 s0, exec_lo, s0
	s_delay_alu instid0(SALU_CYCLE_1) | instskip(NEXT) | instid1(SALU_CYCLE_1)
	s_or_b32 s28, s0, s28
	s_and_not1_b32 exec_lo, exec_lo, s28
	s_cbranch_execz .LBB17_9
.LBB17_7:                               ;   Parent Loop BB17_3 Depth=1
                                        ; =>  This Inner Loop Header: Depth=2
	s_delay_alu instid0(VALU_DEP_2) | instskip(SKIP_2) | instid1(VALU_DEP_2)
	v_ashrrev_i32_e32 v6, 31, v5
	v_ashrrev_i32_e32 v4, 31, v3
	s_mov_b32 s0, exec_lo
	v_lshlrev_b64 v[6:7], 2, v[5:6]
	s_delay_alu instid0(VALU_DEP_2) | instskip(NEXT) | instid1(VALU_DEP_2)
	v_lshlrev_b64 v[8:9], 2, v[3:4]
	v_add_co_u32 v17, vcc_lo, s16, v6
	s_delay_alu instid0(VALU_DEP_3) | instskip(NEXT) | instid1(VALU_DEP_3)
	v_add_co_ci_u32_e32 v18, vcc_lo, s17, v7, vcc_lo
	v_add_co_u32 v19, vcc_lo, s6, v8
	s_delay_alu instid0(VALU_DEP_4)
	v_add_co_ci_u32_e32 v20, vcc_lo, s7, v9, vcc_lo
	global_load_b32 v4, v[17:18], off
	global_load_b32 v17, v[19:20], off
	s_waitcnt vmcnt(0)
	v_cmpx_eq_u32_e64 v4, v17
	s_cbranch_execz .LBB17_6
; %bb.8:                                ;   in Loop: Header=BB17_7 Depth=2
	v_add_co_u32 v8, vcc_lo, s8, v8
	v_add_co_ci_u32_e32 v9, vcc_lo, s9, v9, vcc_lo
	v_add_co_u32 v6, vcc_lo, s10, v6
	v_add_co_ci_u32_e32 v7, vcc_lo, s11, v7, vcc_lo
	global_load_b32 v8, v[8:9], off
	s_waitcnt vmcnt(0)
	v_ashrrev_i32_e32 v9, 31, v8
	s_delay_alu instid0(VALU_DEP_1) | instskip(NEXT) | instid1(VALU_DEP_1)
	v_lshlrev_b64 v[8:9], 2, v[8:9]
	v_add_co_u32 v8, vcc_lo, s10, v8
	s_delay_alu instid0(VALU_DEP_2)
	v_add_co_ci_u32_e32 v9, vcc_lo, s11, v9, vcc_lo
	s_clause 0x1
	global_load_b32 v6, v[6:7], off
	global_load_b32 v7, v[8:9], off
	s_waitcnt vmcnt(0)
	v_fmac_f32_e32 v14, v6, v7
	s_branch .LBB17_6
.LBB17_9:                               ;   in Loop: Header=BB17_3 Depth=1
	s_or_b32 exec_lo, exec_lo, s28
.LBB17_10:                              ;   in Loop: Header=BB17_3 Depth=1
	s_delay_alu instid0(SALU_CYCLE_1) | instskip(SKIP_3) | instid1(VALU_DEP_1)
	s_or_b32 exec_lo, exec_lo, s27
	s_waitcnt vmcnt(1)
	v_sub_f32_e32 v3, v13, v14
	s_waitcnt vmcnt(0)
	v_div_scale_f32 v4, null, v12, v12, v3
	s_delay_alu instid0(VALU_DEP_1) | instskip(SKIP_2) | instid1(VALU_DEP_1)
	v_rcp_f32_e32 v5, v4
	s_waitcnt_depctr 0xfff
	v_fma_f32 v6, -v4, v5, 1.0
	v_fmac_f32_e32 v5, v6, v5
	v_div_scale_f32 v6, vcc_lo, v3, v12, v3
	s_delay_alu instid0(VALU_DEP_1) | instskip(NEXT) | instid1(VALU_DEP_1)
	v_mul_f32_e32 v7, v6, v5
	v_fma_f32 v8, -v4, v7, v6
	s_delay_alu instid0(VALU_DEP_1) | instskip(NEXT) | instid1(VALU_DEP_1)
	v_fmac_f32_e32 v7, v8, v5
	v_fma_f32 v4, -v4, v7, v6
	s_delay_alu instid0(VALU_DEP_1) | instskip(SKIP_1) | instid1(VALU_DEP_2)
	v_div_fmas_f32 v4, v4, v5, v7
	v_cmp_gt_i32_e32 vcc_lo, v11, v10
	v_div_fixup_f32 v4, v4, v12, v3
	s_delay_alu instid0(VALU_DEP_1) | instskip(NEXT) | instid1(VALU_DEP_1)
	v_cndmask_b32_e32 v3, v3, v4, vcc_lo
	v_cmp_class_f32_e64 s0, v3, 0x1f8
	s_delay_alu instid0(VALU_DEP_1)
	s_and_b32 exec_lo, exec_lo, s0
	s_cbranch_execz .LBB17_2
; %bb.11:                               ;   in Loop: Header=BB17_3 Depth=1
	v_add_co_u32 v1, vcc_lo, s10, v1
	v_add_co_ci_u32_e32 v2, vcc_lo, s11, v2, vcc_lo
	global_store_b32 v[1:2], v3, off
	s_branch .LBB17_2
.LBB17_12:
	s_nop 0
	s_sendmsg sendmsg(MSG_DEALLOC_VGPRS)
	s_endpgm
	.section	.rodata,"a",@progbits
	.p2align	6, 0x0
	.amdhsa_kernel _ZN9rocsparseL20kernel_calculate_cooILi1024ELi64ELb0EfiiEEvT4_T3_PKS1_S4_PKT2_21rocsparse_index_base_PKS2_SA_S4_SA_SA_S4_SA_PS5_PNS_15floating_traitsIS5_E6data_tEPKSE_
		.amdhsa_group_segment_fixed_size 0
		.amdhsa_private_segment_fixed_size 0
		.amdhsa_kernarg_size 120
		.amdhsa_user_sgpr_count 15
		.amdhsa_user_sgpr_dispatch_ptr 0
		.amdhsa_user_sgpr_queue_ptr 0
		.amdhsa_user_sgpr_kernarg_segment_ptr 1
		.amdhsa_user_sgpr_dispatch_id 0
		.amdhsa_user_sgpr_private_segment_size 0
		.amdhsa_wavefront_size32 1
		.amdhsa_uses_dynamic_stack 0
		.amdhsa_enable_private_segment 0
		.amdhsa_system_sgpr_workgroup_id_x 1
		.amdhsa_system_sgpr_workgroup_id_y 0
		.amdhsa_system_sgpr_workgroup_id_z 0
		.amdhsa_system_sgpr_workgroup_info 0
		.amdhsa_system_vgpr_workitem_id 0
		.amdhsa_next_free_vgpr 21
		.amdhsa_next_free_sgpr 29
		.amdhsa_reserve_vcc 1
		.amdhsa_float_round_mode_32 0
		.amdhsa_float_round_mode_16_64 0
		.amdhsa_float_denorm_mode_32 3
		.amdhsa_float_denorm_mode_16_64 3
		.amdhsa_dx10_clamp 1
		.amdhsa_ieee_mode 1
		.amdhsa_fp16_overflow 0
		.amdhsa_workgroup_processor_mode 1
		.amdhsa_memory_ordered 1
		.amdhsa_forward_progress 0
		.amdhsa_shared_vgpr_count 0
		.amdhsa_exception_fp_ieee_invalid_op 0
		.amdhsa_exception_fp_denorm_src 0
		.amdhsa_exception_fp_ieee_div_zero 0
		.amdhsa_exception_fp_ieee_overflow 0
		.amdhsa_exception_fp_ieee_underflow 0
		.amdhsa_exception_fp_ieee_inexact 0
		.amdhsa_exception_int_div_zero 0
	.end_amdhsa_kernel
	.section	.text._ZN9rocsparseL20kernel_calculate_cooILi1024ELi64ELb0EfiiEEvT4_T3_PKS1_S4_PKT2_21rocsparse_index_base_PKS2_SA_S4_SA_SA_S4_SA_PS5_PNS_15floating_traitsIS5_E6data_tEPKSE_,"axG",@progbits,_ZN9rocsparseL20kernel_calculate_cooILi1024ELi64ELb0EfiiEEvT4_T3_PKS1_S4_PKT2_21rocsparse_index_base_PKS2_SA_S4_SA_SA_S4_SA_PS5_PNS_15floating_traitsIS5_E6data_tEPKSE_,comdat
.Lfunc_end17:
	.size	_ZN9rocsparseL20kernel_calculate_cooILi1024ELi64ELb0EfiiEEvT4_T3_PKS1_S4_PKT2_21rocsparse_index_base_PKS2_SA_S4_SA_SA_S4_SA_PS5_PNS_15floating_traitsIS5_E6data_tEPKSE_, .Lfunc_end17-_ZN9rocsparseL20kernel_calculate_cooILi1024ELi64ELb0EfiiEEvT4_T3_PKS1_S4_PKT2_21rocsparse_index_base_PKS2_SA_S4_SA_SA_S4_SA_PS5_PNS_15floating_traitsIS5_E6data_tEPKSE_
                                        ; -- End function
	.section	.AMDGPU.csdata,"",@progbits
; Kernel info:
; codeLenInByte = 944
; NumSgprs: 31
; NumVgprs: 21
; ScratchSize: 0
; MemoryBound: 0
; FloatMode: 240
; IeeeMode: 1
; LDSByteSize: 0 bytes/workgroup (compile time only)
; SGPRBlocks: 3
; VGPRBlocks: 2
; NumSGPRsForWavesPerEU: 31
; NumVGPRsForWavesPerEU: 21
; Occupancy: 16
; WaveLimiterHint : 1
; COMPUTE_PGM_RSRC2:SCRATCH_EN: 0
; COMPUTE_PGM_RSRC2:USER_SGPR: 15
; COMPUTE_PGM_RSRC2:TRAP_HANDLER: 0
; COMPUTE_PGM_RSRC2:TGID_X_EN: 1
; COMPUTE_PGM_RSRC2:TGID_Y_EN: 0
; COMPUTE_PGM_RSRC2:TGID_Z_EN: 0
; COMPUTE_PGM_RSRC2:TIDIG_COMP_CNT: 0
	.section	.text._ZN9rocsparseL20kernel_calculate_cooILi1024ELi32ELb1EdiiEEvT4_T3_PKS1_S4_PKT2_21rocsparse_index_base_PKS2_SA_S4_SA_SA_S4_SA_PS5_PNS_15floating_traitsIS5_E6data_tEPKSE_,"axG",@progbits,_ZN9rocsparseL20kernel_calculate_cooILi1024ELi32ELb1EdiiEEvT4_T3_PKS1_S4_PKT2_21rocsparse_index_base_PKS2_SA_S4_SA_SA_S4_SA_PS5_PNS_15floating_traitsIS5_E6data_tEPKSE_,comdat
	.globl	_ZN9rocsparseL20kernel_calculate_cooILi1024ELi32ELb1EdiiEEvT4_T3_PKS1_S4_PKT2_21rocsparse_index_base_PKS2_SA_S4_SA_SA_S4_SA_PS5_PNS_15floating_traitsIS5_E6data_tEPKSE_ ; -- Begin function _ZN9rocsparseL20kernel_calculate_cooILi1024ELi32ELb1EdiiEEvT4_T3_PKS1_S4_PKT2_21rocsparse_index_base_PKS2_SA_S4_SA_SA_S4_SA_PS5_PNS_15floating_traitsIS5_E6data_tEPKSE_
	.p2align	8
	.type	_ZN9rocsparseL20kernel_calculate_cooILi1024ELi32ELb1EdiiEEvT4_T3_PKS1_S4_PKT2_21rocsparse_index_base_PKS2_SA_S4_SA_SA_S4_SA_PS5_PNS_15floating_traitsIS5_E6data_tEPKSE_,@function
_ZN9rocsparseL20kernel_calculate_cooILi1024ELi32ELb1EdiiEEvT4_T3_PKS1_S4_PKT2_21rocsparse_index_base_PKS2_SA_S4_SA_SA_S4_SA_PS5_PNS_15floating_traitsIS5_E6data_tEPKSE_: ; @_ZN9rocsparseL20kernel_calculate_cooILi1024ELi32ELb1EdiiEEvT4_T3_PKS1_S4_PKT2_21rocsparse_index_base_PKS2_SA_S4_SA_SA_S4_SA_PS5_PNS_15floating_traitsIS5_E6data_tEPKSE_
; %bb.0:
	s_load_b32 s3, s[0:1], 0x4
	v_mov_b32_e32 v1, 0
	v_lshl_or_b32 v3, s15, 16, v0
	v_mov_b32_e32 v2, 0
	s_mov_b32 s26, exec_lo
	s_waitcnt lgkmcnt(0)
	s_delay_alu instid0(VALU_DEP_2)
	v_cmpx_gt_i32_e64 s3, v3
	s_cbranch_execz .LBB18_29
; %bb.1:
	s_clause 0x4
	s_load_b256 s[4:11], s[0:1], 0x48
	s_load_b128 s[20:23], s[0:1], 0x8
	s_load_b64 s[24:25], s[0:1], 0x18
	s_load_b256 s[12:19], s[0:1], 0x28
	s_load_b32 s27, s[0:1], 0x20
	v_mov_b32_e32 v1, 0
	v_mov_b32_e32 v2, 0
	s_mov_b32 s28, 0
	s_branch .LBB18_4
.LBB18_2:                               ;   in Loop: Header=BB18_4 Depth=1
	s_or_b32 exec_lo, exec_lo, s31
	s_delay_alu instid0(VALU_DEP_2) | instskip(SKIP_1) | instid1(VALU_DEP_1)
	s_or_b32 vcc_lo, s2, s30
	v_dual_cndmask_b32 v1, v6, v1 :: v_dual_and_b32 v4, 0x7fffffff, v7
	v_cndmask_b32_e32 v2, v4, v2, vcc_lo
.LBB18_3:                               ;   in Loop: Header=BB18_4 Depth=1
	s_or_b32 exec_lo, exec_lo, s29
	v_add_nc_u32_e32 v3, 0x400, v3
	s_add_i32 s28, s28, 1
	s_delay_alu instid0(SALU_CYCLE_1)
	s_cmp_lg_u32 s28, 64
	s_cbranch_scc0 .LBB18_29
.LBB18_4:                               ; =>This Loop Header: Depth=1
                                        ;     Child Loop BB18_8 Depth 2
                                        ;     Child Loop BB18_14 Depth 2
	;; [unrolled: 1-line block ×3, first 2 shown]
	s_mov_b32 s29, exec_lo
	v_cmpx_gt_i32_e64 s3, v3
	s_cbranch_execz .LBB18_3
; %bb.5:                                ;   in Loop: Header=BB18_4 Depth=1
	v_ashrrev_i32_e32 v4, 31, v3
	s_delay_alu instid0(VALU_DEP_1) | instskip(SKIP_1) | instid1(VALU_DEP_1)
	v_lshlrev_b64 v[5:6], 2, v[3:4]
	s_waitcnt lgkmcnt(0)
	v_add_co_u32 v7, vcc_lo, s22, v5
	s_delay_alu instid0(VALU_DEP_2)
	v_add_co_ci_u32_e32 v8, vcc_lo, s23, v6, vcc_lo
	v_add_co_u32 v5, vcc_lo, s20, v5
	v_add_co_ci_u32_e32 v6, vcc_lo, s21, v6, vcc_lo
	global_load_b32 v22, v[7:8], off
	global_load_b32 v23, v[5:6], off
	s_waitcnt vmcnt(1)
	v_subrev_nc_u32_e32 v5, s27, v22
	s_delay_alu instid0(VALU_DEP_1) | instskip(NEXT) | instid1(VALU_DEP_1)
	v_ashrrev_i32_e32 v6, 31, v5
	v_lshlrev_b64 v[6:7], 2, v[5:6]
	v_lshlrev_b64 v[4:5], 3, v[3:4]
	s_delay_alu instid0(VALU_DEP_2) | instskip(NEXT) | instid1(VALU_DEP_3)
	v_add_co_u32 v8, vcc_lo, s14, v6
	v_add_co_ci_u32_e32 v9, vcc_lo, s15, v7, vcc_lo
	global_load_b32 v12, v[8:9], off
	s_waitcnt vmcnt(1)
	v_subrev_nc_u32_e32 v8, s27, v23
	s_delay_alu instid0(VALU_DEP_1) | instskip(NEXT) | instid1(VALU_DEP_1)
	v_ashrrev_i32_e32 v9, 31, v8
	v_lshlrev_b64 v[8:9], 2, v[8:9]
	s_delay_alu instid0(VALU_DEP_1) | instskip(NEXT) | instid1(VALU_DEP_2)
	v_add_co_u32 v10, vcc_lo, s14, v8
	v_add_co_ci_u32_e32 v11, vcc_lo, s15, v9, vcc_lo
	global_load_b32 v16, v[10:11], off
	v_add_co_u32 v10, vcc_lo, s4, v6
	v_add_co_ci_u32_e32 v11, vcc_lo, s5, v7, vcc_lo
	v_add_co_u32 v8, vcc_lo, s12, v8
	v_add_co_ci_u32_e32 v9, vcc_lo, s13, v9, vcc_lo
	;; [unrolled: 2-line block ×4, first 2 shown]
	global_load_b32 v10, v[10:11], off
	global_load_b32 v11, v[8:9], off
	;; [unrolled: 1-line block ×3, first 2 shown]
	s_waitcnt vmcnt(4)
	v_subrev_nc_u32_e32 v12, s27, v12
	s_delay_alu instid0(VALU_DEP_1) | instskip(NEXT) | instid1(VALU_DEP_1)
	v_ashrrev_i32_e32 v13, 31, v12
	v_lshlrev_b64 v[12:13], 3, v[12:13]
	s_delay_alu instid0(VALU_DEP_1) | instskip(NEXT) | instid1(VALU_DEP_2)
	v_add_co_u32 v6, vcc_lo, s10, v12
	v_add_co_ci_u32_e32 v7, vcc_lo, s11, v13, vcc_lo
	global_load_b64 v[8:9], v[14:15], off
	global_load_b64 v[6:7], v[6:7], off
	s_waitcnt vmcnt(5)
	v_subrev_nc_u32_e32 v24, s27, v16
	s_waitcnt vmcnt(4)
	v_subrev_nc_u32_e32 v25, s27, v10
	s_waitcnt vmcnt(3)
	v_cmp_lt_i32_e32 vcc_lo, v11, v16
	s_waitcnt vmcnt(2)
	v_cmp_lt_i32_e64 s2, v17, v10
	v_subrev_nc_u32_e32 v12, s27, v11
	v_mov_b32_e32 v10, 0
	v_mov_b32_e32 v11, 0
	v_subrev_nc_u32_e32 v16, s27, v17
	s_and_b32 s2, vcc_lo, s2
	s_delay_alu instid0(SALU_CYCLE_1)
	s_and_saveexec_b32 s30, s2
	s_cbranch_execz .LBB18_11
; %bb.6:                                ;   in Loop: Header=BB18_4 Depth=1
	v_mov_b32_e32 v10, 0
	v_mov_b32_e32 v11, 0
	s_mov_b32 s31, 0
	s_branch .LBB18_8
.LBB18_7:                               ;   in Loop: Header=BB18_8 Depth=2
	s_or_b32 exec_lo, exec_lo, s2
	v_cmp_le_i32_e32 vcc_lo, v17, v18
	v_add_co_ci_u32_e32 v12, vcc_lo, 0, v12, vcc_lo
	v_cmp_ge_i32_e32 vcc_lo, v17, v18
	v_add_co_ci_u32_e32 v16, vcc_lo, 0, v16, vcc_lo
	s_delay_alu instid0(VALU_DEP_3) | instskip(NEXT) | instid1(VALU_DEP_2)
	v_cmp_ge_i32_e32 vcc_lo, v12, v24
	v_cmp_ge_i32_e64 s2, v16, v25
	s_delay_alu instid0(VALU_DEP_1) | instskip(NEXT) | instid1(SALU_CYCLE_1)
	s_or_b32 s2, vcc_lo, s2
	s_and_b32 s2, exec_lo, s2
	s_delay_alu instid0(SALU_CYCLE_1) | instskip(NEXT) | instid1(SALU_CYCLE_1)
	s_or_b32 s31, s2, s31
	s_and_not1_b32 exec_lo, exec_lo, s31
	s_cbranch_execz .LBB18_10
.LBB18_8:                               ;   Parent Loop BB18_4 Depth=1
                                        ; =>  This Inner Loop Header: Depth=2
	v_ashrrev_i32_e32 v13, 31, v12
	v_ashrrev_i32_e32 v17, 31, v16
	s_mov_b32 s2, exec_lo
	s_delay_alu instid0(VALU_DEP_2) | instskip(NEXT) | instid1(VALU_DEP_2)
	v_lshlrev_b64 v[18:19], 2, v[12:13]
	v_lshlrev_b64 v[14:15], 2, v[16:17]
	s_delay_alu instid0(VALU_DEP_2) | instskip(NEXT) | instid1(VALU_DEP_3)
	v_add_co_u32 v17, vcc_lo, s16, v18
	v_add_co_ci_u32_e32 v18, vcc_lo, s17, v19, vcc_lo
	s_delay_alu instid0(VALU_DEP_3) | instskip(NEXT) | instid1(VALU_DEP_4)
	v_add_co_u32 v19, vcc_lo, s6, v14
	v_add_co_ci_u32_e32 v20, vcc_lo, s7, v15, vcc_lo
	global_load_b32 v17, v[17:18], off
	global_load_b32 v18, v[19:20], off
	s_waitcnt vmcnt(0)
	v_cmpx_eq_u32_e64 v17, v18
	s_cbranch_execz .LBB18_7
; %bb.9:                                ;   in Loop: Header=BB18_8 Depth=2
	v_add_co_u32 v14, vcc_lo, s8, v14
	v_add_co_ci_u32_e32 v15, vcc_lo, s9, v15, vcc_lo
	v_lshlrev_b64 v[19:20], 3, v[12:13]
	global_load_b32 v14, v[14:15], off
	v_add_co_u32 v19, vcc_lo, s10, v19
	v_add_co_ci_u32_e32 v20, vcc_lo, s11, v20, vcc_lo
	s_waitcnt vmcnt(0)
	v_ashrrev_i32_e32 v15, 31, v14
	s_delay_alu instid0(VALU_DEP_1) | instskip(NEXT) | instid1(VALU_DEP_1)
	v_lshlrev_b64 v[13:14], 3, v[14:15]
	v_add_co_u32 v13, vcc_lo, s10, v13
	s_delay_alu instid0(VALU_DEP_2)
	v_add_co_ci_u32_e32 v14, vcc_lo, s11, v14, vcc_lo
	s_clause 0x1
	global_load_b64 v[19:20], v[19:20], off
	global_load_b64 v[13:14], v[13:14], off
	s_waitcnt vmcnt(0)
	v_fma_f64 v[10:11], v[19:20], v[13:14], v[10:11]
	s_branch .LBB18_7
.LBB18_10:                              ;   in Loop: Header=BB18_4 Depth=1
	s_or_b32 exec_lo, exec_lo, s31
.LBB18_11:                              ;   in Loop: Header=BB18_4 Depth=1
	s_delay_alu instid0(SALU_CYCLE_1)
	s_or_b32 exec_lo, exec_lo, s30
	s_waitcnt vmcnt(1)
	v_add_f64 v[14:15], v[10:11], -v[8:9]
	s_mov_b32 s30, exec_lo
	v_cmpx_lt_i32_e64 v16, v25
	s_cbranch_execz .LBB18_19
; %bb.12:                               ;   in Loop: Header=BB18_4 Depth=1
	v_ashrrev_i32_e32 v17, 31, v16
	s_mov_b32 s31, 0
                                        ; implicit-def: $sgpr33
                                        ; implicit-def: $sgpr35
                                        ; implicit-def: $sgpr34
	s_delay_alu instid0(VALU_DEP_1) | instskip(NEXT) | instid1(VALU_DEP_1)
	v_lshlrev_b64 v[18:19], 2, v[16:17]
	v_add_co_u32 v18, vcc_lo, s6, v18
	s_delay_alu instid0(VALU_DEP_2)
	v_add_co_ci_u32_e32 v19, vcc_lo, s7, v19, vcc_lo
	s_set_inst_prefetch_distance 0x1
	s_branch .LBB18_14
	.p2align	6
.LBB18_13:                              ;   in Loop: Header=BB18_14 Depth=2
	s_or_b32 exec_lo, exec_lo, s36
	s_delay_alu instid0(SALU_CYCLE_1) | instskip(NEXT) | instid1(SALU_CYCLE_1)
	s_and_b32 s2, exec_lo, s35
	s_or_b32 s31, s2, s31
	s_and_not1_b32 s2, s33, exec_lo
	s_and_b32 s33, s34, exec_lo
	s_delay_alu instid0(SALU_CYCLE_1)
	s_or_b32 s33, s2, s33
	s_and_not1_b32 exec_lo, exec_lo, s31
	s_cbranch_execz .LBB18_16
.LBB18_14:                              ;   Parent Loop BB18_4 Depth=1
                                        ; =>  This Inner Loop Header: Depth=2
	global_load_b32 v13, v[18:19], off
	v_dual_mov_b32 v21, v17 :: v_dual_mov_b32 v20, v16
	s_or_b32 s34, s34, exec_lo
	s_or_b32 s35, s35, exec_lo
	s_mov_b32 s36, exec_lo
                                        ; implicit-def: $vgpr16_vgpr17
	s_waitcnt vmcnt(0)
	v_cmpx_ne_u32_e64 v13, v23
	s_cbranch_execz .LBB18_13
; %bb.15:                               ;   in Loop: Header=BB18_14 Depth=2
	v_add_co_u32 v16, vcc_lo, v20, 1
	v_add_co_ci_u32_e32 v17, vcc_lo, 0, v21, vcc_lo
	v_add_co_u32 v18, s2, v18, 4
	s_delay_alu instid0(VALU_DEP_3) | instskip(SKIP_4) | instid1(SALU_CYCLE_1)
	v_cmp_ge_i32_e32 vcc_lo, v16, v25
	v_add_co_ci_u32_e64 v19, s2, 0, v19, s2
	s_and_not1_b32 s2, s35, exec_lo
	s_and_not1_b32 s34, s34, exec_lo
	s_and_b32 s35, vcc_lo, exec_lo
	s_or_b32 s35, s2, s35
	s_branch .LBB18_13
.LBB18_16:                              ;   in Loop: Header=BB18_4 Depth=1
	s_set_inst_prefetch_distance 0x2
	s_or_b32 exec_lo, exec_lo, s31
	s_and_saveexec_b32 s2, s33
	s_delay_alu instid0(SALU_CYCLE_1)
	s_xor_b32 s2, exec_lo, s2
	s_cbranch_execz .LBB18_18
; %bb.17:                               ;   in Loop: Header=BB18_4 Depth=1
	v_lshlrev_b64 v[16:17], 2, v[20:21]
	s_delay_alu instid0(VALU_DEP_1) | instskip(NEXT) | instid1(VALU_DEP_2)
	v_add_co_u32 v16, vcc_lo, s8, v16
	v_add_co_ci_u32_e32 v17, vcc_lo, s9, v17, vcc_lo
	global_load_b32 v16, v[16:17], off
	s_waitcnt vmcnt(0)
	v_ashrrev_i32_e32 v17, 31, v16
	s_delay_alu instid0(VALU_DEP_1) | instskip(NEXT) | instid1(VALU_DEP_1)
	v_lshlrev_b64 v[16:17], 3, v[16:17]
	v_add_co_u32 v16, vcc_lo, s10, v16
	s_delay_alu instid0(VALU_DEP_2)
	v_add_co_ci_u32_e32 v17, vcc_lo, s11, v17, vcc_lo
	global_load_b64 v[16:17], v[16:17], off
	s_waitcnt vmcnt(0)
	v_add_f64 v[14:15], v[14:15], v[16:17]
.LBB18_18:                              ;   in Loop: Header=BB18_4 Depth=1
	s_or_b32 exec_lo, exec_lo, s2
.LBB18_19:                              ;   in Loop: Header=BB18_4 Depth=1
	s_delay_alu instid0(SALU_CYCLE_1) | instskip(NEXT) | instid1(SALU_CYCLE_1)
	s_or_b32 exec_lo, exec_lo, s30
	s_mov_b32 s30, exec_lo
	v_cmpx_lt_i32_e64 v12, v24
	s_cbranch_execz .LBB18_27
; %bb.20:                               ;   in Loop: Header=BB18_4 Depth=1
	v_ashrrev_i32_e32 v13, 31, v12
	s_mov_b32 s31, 0
                                        ; implicit-def: $sgpr33
                                        ; implicit-def: $sgpr35
                                        ; implicit-def: $sgpr34
	s_delay_alu instid0(VALU_DEP_1) | instskip(NEXT) | instid1(VALU_DEP_1)
	v_lshlrev_b64 v[16:17], 2, v[12:13]
	v_add_co_u32 v16, vcc_lo, s16, v16
	s_delay_alu instid0(VALU_DEP_2)
	v_add_co_ci_u32_e32 v17, vcc_lo, s17, v17, vcc_lo
	s_set_inst_prefetch_distance 0x1
	s_branch .LBB18_22
	.p2align	6
.LBB18_21:                              ;   in Loop: Header=BB18_22 Depth=2
	s_or_b32 exec_lo, exec_lo, s36
	s_delay_alu instid0(SALU_CYCLE_1) | instskip(NEXT) | instid1(SALU_CYCLE_1)
	s_and_b32 s2, exec_lo, s35
	s_or_b32 s31, s2, s31
	s_and_not1_b32 s2, s33, exec_lo
	s_and_b32 s33, s34, exec_lo
	s_delay_alu instid0(SALU_CYCLE_1)
	s_or_b32 s33, s2, s33
	s_and_not1_b32 exec_lo, exec_lo, s31
	s_cbranch_execz .LBB18_24
.LBB18_22:                              ;   Parent Loop BB18_4 Depth=1
                                        ; =>  This Inner Loop Header: Depth=2
	global_load_b32 v20, v[16:17], off
	v_dual_mov_b32 v19, v13 :: v_dual_mov_b32 v18, v12
	s_or_b32 s34, s34, exec_lo
	s_or_b32 s35, s35, exec_lo
	s_mov_b32 s36, exec_lo
                                        ; implicit-def: $vgpr12_vgpr13
	s_waitcnt vmcnt(0)
	v_cmpx_ne_u32_e64 v20, v22
	s_cbranch_execz .LBB18_21
; %bb.23:                               ;   in Loop: Header=BB18_22 Depth=2
	v_add_co_u32 v12, vcc_lo, v18, 1
	v_add_co_ci_u32_e32 v13, vcc_lo, 0, v19, vcc_lo
	v_add_co_u32 v16, s2, v16, 4
	s_delay_alu instid0(VALU_DEP_3) | instskip(SKIP_4) | instid1(SALU_CYCLE_1)
	v_cmp_ge_i32_e32 vcc_lo, v12, v24
	v_add_co_ci_u32_e64 v17, s2, 0, v17, s2
	s_and_not1_b32 s2, s35, exec_lo
	s_and_not1_b32 s34, s34, exec_lo
	s_and_b32 s35, vcc_lo, exec_lo
	s_or_b32 s35, s2, s35
	s_branch .LBB18_21
.LBB18_24:                              ;   in Loop: Header=BB18_4 Depth=1
	s_set_inst_prefetch_distance 0x2
	s_or_b32 exec_lo, exec_lo, s31
	s_and_saveexec_b32 s2, s33
	s_delay_alu instid0(SALU_CYCLE_1)
	s_xor_b32 s2, exec_lo, s2
	s_cbranch_execz .LBB18_26
; %bb.25:                               ;   in Loop: Header=BB18_4 Depth=1
	v_lshlrev_b64 v[12:13], 3, v[18:19]
	s_delay_alu instid0(VALU_DEP_1) | instskip(NEXT) | instid1(VALU_DEP_2)
	v_add_co_u32 v12, vcc_lo, s10, v12
	v_add_co_ci_u32_e32 v13, vcc_lo, s11, v13, vcc_lo
	global_load_b64 v[12:13], v[12:13], off
	s_waitcnt vmcnt(0)
	v_fma_f64 v[14:15], v[12:13], v[6:7], v[14:15]
.LBB18_26:                              ;   in Loop: Header=BB18_4 Depth=1
	s_or_b32 exec_lo, exec_lo, s2
.LBB18_27:                              ;   in Loop: Header=BB18_4 Depth=1
	s_delay_alu instid0(SALU_CYCLE_1) | instskip(SKIP_3) | instid1(VALU_DEP_2)
	s_or_b32 exec_lo, exec_lo, s30
	v_add_f64 v[8:9], v[8:9], -v[10:11]
	v_cmp_gt_i32_e64 s2, v23, v22
	s_waitcnt vmcnt(0)
	v_div_scale_f64 v[10:11], null, v[6:7], v[6:7], v[8:9]
	v_div_scale_f64 v[18:19], vcc_lo, v[8:9], v[6:7], v[8:9]
	s_delay_alu instid0(VALU_DEP_2) | instskip(SKIP_2) | instid1(VALU_DEP_1)
	v_rcp_f64_e32 v[12:13], v[10:11]
	s_waitcnt_depctr 0xfff
	v_fma_f64 v[16:17], -v[10:11], v[12:13], 1.0
	v_fma_f64 v[12:13], v[12:13], v[16:17], v[12:13]
	s_delay_alu instid0(VALU_DEP_1) | instskip(NEXT) | instid1(VALU_DEP_1)
	v_fma_f64 v[16:17], -v[10:11], v[12:13], 1.0
	v_fma_f64 v[12:13], v[12:13], v[16:17], v[12:13]
	s_delay_alu instid0(VALU_DEP_1) | instskip(NEXT) | instid1(VALU_DEP_1)
	v_mul_f64 v[16:17], v[18:19], v[12:13]
	v_fma_f64 v[10:11], -v[10:11], v[16:17], v[18:19]
	s_delay_alu instid0(VALU_DEP_1) | instskip(SKIP_2) | instid1(VALU_DEP_3)
	v_div_fmas_f64 v[10:11], v[10:11], v[12:13], v[16:17]
	v_add_f64 v[12:13], v[6:7], v[14:15]
	v_cmp_eq_u32_e32 vcc_lo, v23, v22
	v_div_fixup_f64 v[10:11], v[10:11], v[6:7], v[8:9]
	s_delay_alu instid0(VALU_DEP_3) | instskip(NEXT) | instid1(VALU_DEP_1)
	v_dual_cndmask_b32 v7, v15, v13 :: v_dual_cndmask_b32 v6, v14, v12
	v_cmp_gt_f64_e64 s30, v[1:2], |v[6:7]|
	s_delay_alu instid0(VALU_DEP_3) | instskip(NEXT) | instid1(VALU_DEP_4)
	v_cndmask_b32_e64 v9, v9, v11, s2
	v_cndmask_b32_e64 v8, v8, v10, s2
	v_cmp_nlg_f64_e64 s2, 0x7ff00000, |v[6:7]|
	s_delay_alu instid0(VALU_DEP_2) | instskip(NEXT) | instid1(VALU_DEP_1)
	v_cmp_class_f64_e64 s33, v[8:9], 0x1f8
	s_and_saveexec_b32 s31, s33
	s_cbranch_execz .LBB18_2
; %bb.28:                               ;   in Loop: Header=BB18_4 Depth=1
	v_add_co_u32 v4, vcc_lo, s10, v4
	v_add_co_ci_u32_e32 v5, vcc_lo, s11, v5, vcc_lo
	global_store_b64 v[4:5], v[8:9], off
	s_branch .LBB18_2
.LBB18_29:
	s_or_b32 exec_lo, exec_lo, s26
	v_mbcnt_lo_u32_b32 v5, -1, 0
	s_delay_alu instid0(VALU_DEP_1) | instskip(SKIP_1) | instid1(VALU_DEP_2)
	v_xor_b32_e32 v3, 16, v5
	v_xor_b32_e32 v6, 8, v5
	v_cmp_gt_i32_e32 vcc_lo, 32, v3
	s_delay_alu instid0(VALU_DEP_2) | instskip(NEXT) | instid1(VALU_DEP_1)
	v_cmp_gt_i32_e64 s2, 32, v6
	v_cndmask_b32_e64 v6, v5, v6, s2
	s_delay_alu instid0(VALU_DEP_1) | instskip(NEXT) | instid1(VALU_DEP_1)
	v_dual_cndmask_b32 v3, v5, v3 :: v_dual_lshlrev_b32 v6, 2, v6
	v_lshlrev_b32_e32 v4, 2, v3
	ds_bpermute_b32 v3, v4, v1
	ds_bpermute_b32 v4, v4, v2
	s_waitcnt lgkmcnt(0)
	v_cmp_lt_f64_e32 vcc_lo, v[1:2], v[3:4]
	v_dual_cndmask_b32 v2, v2, v4 :: v_dual_cndmask_b32 v1, v1, v3
	ds_bpermute_b32 v4, v6, v2
	ds_bpermute_b32 v3, v6, v1
	v_xor_b32_e32 v6, 4, v5
	s_delay_alu instid0(VALU_DEP_1) | instskip(NEXT) | instid1(VALU_DEP_1)
	v_cmp_gt_i32_e64 s2, 32, v6
	v_cndmask_b32_e64 v6, v5, v6, s2
	s_waitcnt lgkmcnt(0)
	v_cmp_lt_f64_e32 vcc_lo, v[1:2], v[3:4]
	s_delay_alu instid0(VALU_DEP_2) | instskip(SKIP_4) | instid1(VALU_DEP_1)
	v_dual_cndmask_b32 v1, v1, v3 :: v_dual_lshlrev_b32 v6, 2, v6
	ds_bpermute_b32 v3, v6, v1
	v_cndmask_b32_e32 v2, v2, v4, vcc_lo
	ds_bpermute_b32 v4, v6, v2
	v_xor_b32_e32 v6, 2, v5
	v_cmp_gt_i32_e64 s2, 32, v6
	s_delay_alu instid0(VALU_DEP_1) | instskip(SKIP_2) | instid1(VALU_DEP_2)
	v_cndmask_b32_e64 v6, v5, v6, s2
	s_waitcnt lgkmcnt(0)
	v_cmp_lt_f64_e32 vcc_lo, v[1:2], v[3:4]
	v_dual_cndmask_b32 v1, v1, v3 :: v_dual_lshlrev_b32 v6, 2, v6
	v_cndmask_b32_e32 v2, v2, v4, vcc_lo
	ds_bpermute_b32 v3, v6, v1
	ds_bpermute_b32 v4, v6, v2
	v_xor_b32_e32 v6, 1, v5
	s_delay_alu instid0(VALU_DEP_1) | instskip(NEXT) | instid1(VALU_DEP_1)
	v_cmp_gt_i32_e64 s2, 32, v6
	v_cndmask_b32_e64 v5, v5, v6, s2
	s_mov_b32 s2, exec_lo
	s_delay_alu instid0(VALU_DEP_1)
	v_lshlrev_b32_e32 v5, 2, v5
	s_waitcnt lgkmcnt(0)
	v_cmp_lt_f64_e32 vcc_lo, v[1:2], v[3:4]
	v_dual_cndmask_b32 v2, v2, v4 :: v_dual_cndmask_b32 v1, v1, v3
	ds_bpermute_b32 v4, v5, v2
	ds_bpermute_b32 v3, v5, v1
	v_and_b32_e32 v5, 31, v0
	s_delay_alu instid0(VALU_DEP_1)
	v_cmpx_eq_u32_e32 31, v5
	s_cbranch_execz .LBB18_31
; %bb.30:
	s_waitcnt lgkmcnt(0)
	v_cmp_lt_f64_e32 vcc_lo, v[1:2], v[3:4]
	v_lshrrev_b32_e32 v5, 2, v0
	s_delay_alu instid0(VALU_DEP_1)
	v_dual_cndmask_b32 v2, v2, v4 :: v_dual_and_b32 v5, 0xf8, v5
	v_cndmask_b32_e32 v1, v1, v3, vcc_lo
	ds_store_b64 v5, v[1:2]
.LBB18_31:
	s_or_b32 exec_lo, exec_lo, s2
	v_lshlrev_b32_e32 v1, 3, v0
	s_mov_b32 s2, exec_lo
	s_waitcnt lgkmcnt(0)
	s_waitcnt_vscnt null, 0x0
	s_barrier
	buffer_gl0_inv
	v_cmpx_gt_u32_e32 16, v0
	s_cbranch_execz .LBB18_33
; %bb.32:
	ds_load_2addr_b64 v[2:5], v1 offset1:16
	s_waitcnt lgkmcnt(0)
	v_cmp_lt_f64_e32 vcc_lo, v[2:3], v[4:5]
	v_dual_cndmask_b32 v3, v3, v5 :: v_dual_cndmask_b32 v2, v2, v4
	ds_store_b64 v1, v[2:3]
.LBB18_33:
	s_or_b32 exec_lo, exec_lo, s2
	s_delay_alu instid0(SALU_CYCLE_1)
	s_mov_b32 s2, exec_lo
	s_waitcnt lgkmcnt(0)
	s_barrier
	buffer_gl0_inv
	v_cmpx_gt_u32_e32 8, v0
	s_cbranch_execz .LBB18_35
; %bb.34:
	ds_load_2addr_b64 v[2:5], v1 offset1:8
	s_waitcnt lgkmcnt(0)
	v_cmp_lt_f64_e32 vcc_lo, v[2:3], v[4:5]
	v_dual_cndmask_b32 v3, v3, v5 :: v_dual_cndmask_b32 v2, v2, v4
	ds_store_b64 v1, v[2:3]
.LBB18_35:
	s_or_b32 exec_lo, exec_lo, s2
	s_delay_alu instid0(SALU_CYCLE_1)
	s_mov_b32 s2, exec_lo
	s_waitcnt lgkmcnt(0)
	;; [unrolled: 15-line block ×3, first 2 shown]
	s_barrier
	buffer_gl0_inv
	v_cmpx_gt_u32_e32 2, v0
	s_cbranch_execz .LBB18_39
; %bb.38:
	ds_load_2addr_b64 v[2:5], v1 offset1:2
	s_waitcnt lgkmcnt(0)
	v_cmp_lt_f64_e32 vcc_lo, v[2:3], v[4:5]
	v_dual_cndmask_b32 v3, v3, v5 :: v_dual_cndmask_b32 v2, v2, v4
	ds_store_b64 v1, v[2:3]
.LBB18_39:
	s_or_b32 exec_lo, exec_lo, s2
	v_cmp_eq_u32_e32 vcc_lo, 0, v0
	s_waitcnt lgkmcnt(0)
	s_barrier
	buffer_gl0_inv
	s_and_saveexec_b32 s3, vcc_lo
	s_cbranch_execz .LBB18_41
; %bb.40:
	v_mov_b32_e32 v4, 0
	ds_load_b128 v[0:3], v4
	s_waitcnt lgkmcnt(0)
	v_cmp_lt_f64_e64 s2, v[0:1], v[2:3]
	s_delay_alu instid0(VALU_DEP_1)
	v_cndmask_b32_e64 v1, v1, v3, s2
	v_cndmask_b32_e64 v0, v0, v2, s2
	ds_store_b64 v4, v[0:1]
.LBB18_41:
	s_or_b32 exec_lo, exec_lo, s3
	s_waitcnt lgkmcnt(0)
	s_barrier
	buffer_gl0_inv
	s_and_saveexec_b32 s2, vcc_lo
	s_cbranch_execz .LBB18_46
; %bb.42:
	s_load_b128 s[4:7], s[0:1], 0x68
	v_mov_b32_e32 v4, 0
	s_brev_b32 s3, 1
	s_mov_b32 s2, 0
	ds_load_b64 v[0:1], v4
	s_waitcnt lgkmcnt(0)
	s_load_b64 s[0:1], s[6:7], 0x0
	global_load_b64 v[2:3], v4, s[4:5] glc
	s_waitcnt lgkmcnt(0)
	v_div_scale_f64 v[5:6], null, s[0:1], s[0:1], v[0:1]
	s_delay_alu instid0(VALU_DEP_1) | instskip(SKIP_2) | instid1(VALU_DEP_1)
	v_rcp_f64_e32 v[7:8], v[5:6]
	s_waitcnt_depctr 0xfff
	v_fma_f64 v[9:10], -v[5:6], v[7:8], 1.0
	v_fma_f64 v[7:8], v[7:8], v[9:10], v[7:8]
	s_delay_alu instid0(VALU_DEP_1) | instskip(NEXT) | instid1(VALU_DEP_1)
	v_fma_f64 v[9:10], -v[5:6], v[7:8], 1.0
	v_fma_f64 v[7:8], v[7:8], v[9:10], v[7:8]
	v_div_scale_f64 v[9:10], vcc_lo, v[0:1], s[0:1], v[0:1]
	s_delay_alu instid0(VALU_DEP_1) | instskip(NEXT) | instid1(VALU_DEP_1)
	v_mul_f64 v[11:12], v[9:10], v[7:8]
	v_fma_f64 v[5:6], -v[5:6], v[11:12], v[9:10]
	s_waitcnt vmcnt(0)
	v_cmp_eq_u64_e64 s6, s[2:3], v[2:3]
                                        ; implicit-def: $sgpr3
	s_delay_alu instid0(VALU_DEP_2) | instskip(NEXT) | instid1(VALU_DEP_1)
	v_div_fmas_f64 v[5:6], v[5:6], v[7:8], v[11:12]
	v_div_fixup_f64 v[0:1], v[5:6], s[0:1], v[0:1]
                                        ; implicit-def: $sgpr1
	s_delay_alu instid0(VALU_DEP_1)
	v_cmp_eq_f64_e32 vcc_lo, 0, v[0:1]
	s_set_inst_prefetch_distance 0x1
	s_branch .LBB18_44
	.p2align	6
.LBB18_43:                              ;   in Loop: Header=BB18_44 Depth=1
	s_or_b32 exec_lo, exec_lo, s7
	s_delay_alu instid0(SALU_CYCLE_1) | instskip(NEXT) | instid1(SALU_CYCLE_1)
	s_and_b32 s0, exec_lo, s1
	s_or_b32 s2, s0, s2
	s_and_not1_b32 s0, s6, exec_lo
	s_and_b32 s6, s3, exec_lo
	s_delay_alu instid0(SALU_CYCLE_1)
	s_or_b32 s6, s0, s6
	s_and_not1_b32 exec_lo, exec_lo, s2
	s_cbranch_execz .LBB18_46
.LBB18_44:                              ; =>This Inner Loop Header: Depth=1
	v_cmp_lt_f64_e64 s0, v[2:3], v[0:1]
	s_and_b32 s7, vcc_lo, s6
	s_and_not1_b32 s3, s3, exec_lo
	s_or_b32 s1, s1, exec_lo
	s_delay_alu instid0(VALU_DEP_1) | instskip(NEXT) | instid1(SALU_CYCLE_1)
	s_or_b32 s0, s0, s7
	s_and_saveexec_b32 s7, s0
	s_cbranch_execz .LBB18_43
; %bb.45:                               ;   in Loop: Header=BB18_44 Depth=1
	global_atomic_cmpswap_b64 v[5:6], v4, v[0:3], s[4:5] glc
	s_and_not1_b32 s3, s3, exec_lo
	s_and_not1_b32 s1, s1, exec_lo
	s_waitcnt vmcnt(0)
	v_cmp_eq_u64_e64 s0, v[5:6], v[2:3]
	s_delay_alu instid0(VALU_DEP_1) | instskip(SKIP_2) | instid1(SALU_CYCLE_1)
	v_cndmask_b32_e64 v3, v6, v3, s0
	v_cndmask_b32_e64 v2, v5, v2, s0
	s_and_b32 s0, s0, exec_lo
	s_or_b32 s1, s1, s0
	s_delay_alu instid0(VALU_DEP_1) | instskip(SKIP_1) | instid1(VALU_DEP_2)
	v_cmp_class_f64_e64 s6, v[2:3], 32
	v_dual_mov_b32 v2, v5 :: v_dual_mov_b32 v3, v6
	s_and_b32 s6, s6, exec_lo
	s_delay_alu instid0(SALU_CYCLE_1)
	s_or_b32 s3, s3, s6
                                        ; implicit-def: $sgpr6
	s_branch .LBB18_43
.LBB18_46:
	s_set_inst_prefetch_distance 0x2
	s_endpgm
	.section	.rodata,"a",@progbits
	.p2align	6, 0x0
	.amdhsa_kernel _ZN9rocsparseL20kernel_calculate_cooILi1024ELi32ELb1EdiiEEvT4_T3_PKS1_S4_PKT2_21rocsparse_index_base_PKS2_SA_S4_SA_SA_S4_SA_PS5_PNS_15floating_traitsIS5_E6data_tEPKSE_
		.amdhsa_group_segment_fixed_size 256
		.amdhsa_private_segment_fixed_size 0
		.amdhsa_kernarg_size 120
		.amdhsa_user_sgpr_count 15
		.amdhsa_user_sgpr_dispatch_ptr 0
		.amdhsa_user_sgpr_queue_ptr 0
		.amdhsa_user_sgpr_kernarg_segment_ptr 1
		.amdhsa_user_sgpr_dispatch_id 0
		.amdhsa_user_sgpr_private_segment_size 0
		.amdhsa_wavefront_size32 1
		.amdhsa_uses_dynamic_stack 0
		.amdhsa_enable_private_segment 0
		.amdhsa_system_sgpr_workgroup_id_x 1
		.amdhsa_system_sgpr_workgroup_id_y 0
		.amdhsa_system_sgpr_workgroup_id_z 0
		.amdhsa_system_sgpr_workgroup_info 0
		.amdhsa_system_vgpr_workitem_id 0
		.amdhsa_next_free_vgpr 26
		.amdhsa_next_free_sgpr 37
		.amdhsa_reserve_vcc 1
		.amdhsa_float_round_mode_32 0
		.amdhsa_float_round_mode_16_64 0
		.amdhsa_float_denorm_mode_32 3
		.amdhsa_float_denorm_mode_16_64 3
		.amdhsa_dx10_clamp 1
		.amdhsa_ieee_mode 1
		.amdhsa_fp16_overflow 0
		.amdhsa_workgroup_processor_mode 1
		.amdhsa_memory_ordered 1
		.amdhsa_forward_progress 0
		.amdhsa_shared_vgpr_count 0
		.amdhsa_exception_fp_ieee_invalid_op 0
		.amdhsa_exception_fp_denorm_src 0
		.amdhsa_exception_fp_ieee_div_zero 0
		.amdhsa_exception_fp_ieee_overflow 0
		.amdhsa_exception_fp_ieee_underflow 0
		.amdhsa_exception_fp_ieee_inexact 0
		.amdhsa_exception_int_div_zero 0
	.end_amdhsa_kernel
	.section	.text._ZN9rocsparseL20kernel_calculate_cooILi1024ELi32ELb1EdiiEEvT4_T3_PKS1_S4_PKT2_21rocsparse_index_base_PKS2_SA_S4_SA_SA_S4_SA_PS5_PNS_15floating_traitsIS5_E6data_tEPKSE_,"axG",@progbits,_ZN9rocsparseL20kernel_calculate_cooILi1024ELi32ELb1EdiiEEvT4_T3_PKS1_S4_PKT2_21rocsparse_index_base_PKS2_SA_S4_SA_SA_S4_SA_PS5_PNS_15floating_traitsIS5_E6data_tEPKSE_,comdat
.Lfunc_end18:
	.size	_ZN9rocsparseL20kernel_calculate_cooILi1024ELi32ELb1EdiiEEvT4_T3_PKS1_S4_PKT2_21rocsparse_index_base_PKS2_SA_S4_SA_SA_S4_SA_PS5_PNS_15floating_traitsIS5_E6data_tEPKSE_, .Lfunc_end18-_ZN9rocsparseL20kernel_calculate_cooILi1024ELi32ELb1EdiiEEvT4_T3_PKS1_S4_PKT2_21rocsparse_index_base_PKS2_SA_S4_SA_SA_S4_SA_PS5_PNS_15floating_traitsIS5_E6data_tEPKSE_
                                        ; -- End function
	.section	.AMDGPU.csdata,"",@progbits
; Kernel info:
; codeLenInByte = 2804
; NumSgprs: 39
; NumVgprs: 26
; ScratchSize: 0
; MemoryBound: 1
; FloatMode: 240
; IeeeMode: 1
; LDSByteSize: 256 bytes/workgroup (compile time only)
; SGPRBlocks: 4
; VGPRBlocks: 3
; NumSGPRsForWavesPerEU: 39
; NumVGPRsForWavesPerEU: 26
; Occupancy: 16
; WaveLimiterHint : 1
; COMPUTE_PGM_RSRC2:SCRATCH_EN: 0
; COMPUTE_PGM_RSRC2:USER_SGPR: 15
; COMPUTE_PGM_RSRC2:TRAP_HANDLER: 0
; COMPUTE_PGM_RSRC2:TGID_X_EN: 1
; COMPUTE_PGM_RSRC2:TGID_Y_EN: 0
; COMPUTE_PGM_RSRC2:TGID_Z_EN: 0
; COMPUTE_PGM_RSRC2:TIDIG_COMP_CNT: 0
	.section	.text._ZN9rocsparseL20kernel_calculate_cooILi1024ELi64ELb1EdiiEEvT4_T3_PKS1_S4_PKT2_21rocsparse_index_base_PKS2_SA_S4_SA_SA_S4_SA_PS5_PNS_15floating_traitsIS5_E6data_tEPKSE_,"axG",@progbits,_ZN9rocsparseL20kernel_calculate_cooILi1024ELi64ELb1EdiiEEvT4_T3_PKS1_S4_PKT2_21rocsparse_index_base_PKS2_SA_S4_SA_SA_S4_SA_PS5_PNS_15floating_traitsIS5_E6data_tEPKSE_,comdat
	.globl	_ZN9rocsparseL20kernel_calculate_cooILi1024ELi64ELb1EdiiEEvT4_T3_PKS1_S4_PKT2_21rocsparse_index_base_PKS2_SA_S4_SA_SA_S4_SA_PS5_PNS_15floating_traitsIS5_E6data_tEPKSE_ ; -- Begin function _ZN9rocsparseL20kernel_calculate_cooILi1024ELi64ELb1EdiiEEvT4_T3_PKS1_S4_PKT2_21rocsparse_index_base_PKS2_SA_S4_SA_SA_S4_SA_PS5_PNS_15floating_traitsIS5_E6data_tEPKSE_
	.p2align	8
	.type	_ZN9rocsparseL20kernel_calculate_cooILi1024ELi64ELb1EdiiEEvT4_T3_PKS1_S4_PKT2_21rocsparse_index_base_PKS2_SA_S4_SA_SA_S4_SA_PS5_PNS_15floating_traitsIS5_E6data_tEPKSE_,@function
_ZN9rocsparseL20kernel_calculate_cooILi1024ELi64ELb1EdiiEEvT4_T3_PKS1_S4_PKT2_21rocsparse_index_base_PKS2_SA_S4_SA_SA_S4_SA_PS5_PNS_15floating_traitsIS5_E6data_tEPKSE_: ; @_ZN9rocsparseL20kernel_calculate_cooILi1024ELi64ELb1EdiiEEvT4_T3_PKS1_S4_PKT2_21rocsparse_index_base_PKS2_SA_S4_SA_SA_S4_SA_PS5_PNS_15floating_traitsIS5_E6data_tEPKSE_
; %bb.0:
	s_load_b32 s3, s[0:1], 0x4
	v_mov_b32_e32 v1, 0
	v_lshl_or_b32 v3, s15, 16, v0
	v_mov_b32_e32 v2, 0
	s_mov_b32 s26, exec_lo
	s_waitcnt lgkmcnt(0)
	s_delay_alu instid0(VALU_DEP_2)
	v_cmpx_gt_i32_e64 s3, v3
	s_cbranch_execz .LBB19_29
; %bb.1:
	s_clause 0x4
	s_load_b256 s[4:11], s[0:1], 0x48
	s_load_b128 s[20:23], s[0:1], 0x8
	s_load_b64 s[24:25], s[0:1], 0x18
	s_load_b256 s[12:19], s[0:1], 0x28
	s_load_b32 s27, s[0:1], 0x20
	v_mov_b32_e32 v1, 0
	v_mov_b32_e32 v2, 0
	s_mov_b32 s28, 0
	s_branch .LBB19_4
.LBB19_2:                               ;   in Loop: Header=BB19_4 Depth=1
	s_or_b32 exec_lo, exec_lo, s31
	s_delay_alu instid0(VALU_DEP_2) | instskip(SKIP_1) | instid1(VALU_DEP_1)
	s_or_b32 vcc_lo, s2, s30
	v_dual_cndmask_b32 v1, v6, v1 :: v_dual_and_b32 v4, 0x7fffffff, v7
	v_cndmask_b32_e32 v2, v4, v2, vcc_lo
.LBB19_3:                               ;   in Loop: Header=BB19_4 Depth=1
	s_or_b32 exec_lo, exec_lo, s29
	v_add_nc_u32_e32 v3, 0x400, v3
	s_add_i32 s28, s28, 1
	s_delay_alu instid0(SALU_CYCLE_1)
	s_cmp_lg_u32 s28, 64
	s_cbranch_scc0 .LBB19_29
.LBB19_4:                               ; =>This Loop Header: Depth=1
                                        ;     Child Loop BB19_8 Depth 2
                                        ;     Child Loop BB19_14 Depth 2
	;; [unrolled: 1-line block ×3, first 2 shown]
	s_mov_b32 s29, exec_lo
	v_cmpx_gt_i32_e64 s3, v3
	s_cbranch_execz .LBB19_3
; %bb.5:                                ;   in Loop: Header=BB19_4 Depth=1
	v_ashrrev_i32_e32 v4, 31, v3
	s_delay_alu instid0(VALU_DEP_1) | instskip(SKIP_1) | instid1(VALU_DEP_1)
	v_lshlrev_b64 v[5:6], 2, v[3:4]
	s_waitcnt lgkmcnt(0)
	v_add_co_u32 v7, vcc_lo, s22, v5
	s_delay_alu instid0(VALU_DEP_2)
	v_add_co_ci_u32_e32 v8, vcc_lo, s23, v6, vcc_lo
	v_add_co_u32 v5, vcc_lo, s20, v5
	v_add_co_ci_u32_e32 v6, vcc_lo, s21, v6, vcc_lo
	global_load_b32 v22, v[7:8], off
	global_load_b32 v23, v[5:6], off
	s_waitcnt vmcnt(1)
	v_subrev_nc_u32_e32 v5, s27, v22
	s_delay_alu instid0(VALU_DEP_1) | instskip(NEXT) | instid1(VALU_DEP_1)
	v_ashrrev_i32_e32 v6, 31, v5
	v_lshlrev_b64 v[6:7], 2, v[5:6]
	v_lshlrev_b64 v[4:5], 3, v[3:4]
	s_delay_alu instid0(VALU_DEP_2) | instskip(NEXT) | instid1(VALU_DEP_3)
	v_add_co_u32 v8, vcc_lo, s14, v6
	v_add_co_ci_u32_e32 v9, vcc_lo, s15, v7, vcc_lo
	global_load_b32 v12, v[8:9], off
	s_waitcnt vmcnt(1)
	v_subrev_nc_u32_e32 v8, s27, v23
	s_delay_alu instid0(VALU_DEP_1) | instskip(NEXT) | instid1(VALU_DEP_1)
	v_ashrrev_i32_e32 v9, 31, v8
	v_lshlrev_b64 v[8:9], 2, v[8:9]
	s_delay_alu instid0(VALU_DEP_1) | instskip(NEXT) | instid1(VALU_DEP_2)
	v_add_co_u32 v10, vcc_lo, s14, v8
	v_add_co_ci_u32_e32 v11, vcc_lo, s15, v9, vcc_lo
	global_load_b32 v16, v[10:11], off
	v_add_co_u32 v10, vcc_lo, s4, v6
	v_add_co_ci_u32_e32 v11, vcc_lo, s5, v7, vcc_lo
	v_add_co_u32 v8, vcc_lo, s12, v8
	v_add_co_ci_u32_e32 v9, vcc_lo, s13, v9, vcc_lo
	;; [unrolled: 2-line block ×4, first 2 shown]
	global_load_b32 v10, v[10:11], off
	global_load_b32 v11, v[8:9], off
	;; [unrolled: 1-line block ×3, first 2 shown]
	s_waitcnt vmcnt(4)
	v_subrev_nc_u32_e32 v12, s27, v12
	s_delay_alu instid0(VALU_DEP_1) | instskip(NEXT) | instid1(VALU_DEP_1)
	v_ashrrev_i32_e32 v13, 31, v12
	v_lshlrev_b64 v[12:13], 3, v[12:13]
	s_delay_alu instid0(VALU_DEP_1) | instskip(NEXT) | instid1(VALU_DEP_2)
	v_add_co_u32 v6, vcc_lo, s10, v12
	v_add_co_ci_u32_e32 v7, vcc_lo, s11, v13, vcc_lo
	global_load_b64 v[8:9], v[14:15], off
	global_load_b64 v[6:7], v[6:7], off
	s_waitcnt vmcnt(5)
	v_subrev_nc_u32_e32 v24, s27, v16
	s_waitcnt vmcnt(4)
	v_subrev_nc_u32_e32 v25, s27, v10
	s_waitcnt vmcnt(3)
	v_cmp_lt_i32_e32 vcc_lo, v11, v16
	s_waitcnt vmcnt(2)
	v_cmp_lt_i32_e64 s2, v17, v10
	v_subrev_nc_u32_e32 v12, s27, v11
	v_mov_b32_e32 v10, 0
	v_mov_b32_e32 v11, 0
	v_subrev_nc_u32_e32 v16, s27, v17
	s_and_b32 s2, vcc_lo, s2
	s_delay_alu instid0(SALU_CYCLE_1)
	s_and_saveexec_b32 s30, s2
	s_cbranch_execz .LBB19_11
; %bb.6:                                ;   in Loop: Header=BB19_4 Depth=1
	v_mov_b32_e32 v10, 0
	v_mov_b32_e32 v11, 0
	s_mov_b32 s31, 0
	s_branch .LBB19_8
.LBB19_7:                               ;   in Loop: Header=BB19_8 Depth=2
	s_or_b32 exec_lo, exec_lo, s2
	v_cmp_le_i32_e32 vcc_lo, v17, v18
	v_add_co_ci_u32_e32 v12, vcc_lo, 0, v12, vcc_lo
	v_cmp_ge_i32_e32 vcc_lo, v17, v18
	v_add_co_ci_u32_e32 v16, vcc_lo, 0, v16, vcc_lo
	s_delay_alu instid0(VALU_DEP_3) | instskip(NEXT) | instid1(VALU_DEP_2)
	v_cmp_ge_i32_e32 vcc_lo, v12, v24
	v_cmp_ge_i32_e64 s2, v16, v25
	s_delay_alu instid0(VALU_DEP_1) | instskip(NEXT) | instid1(SALU_CYCLE_1)
	s_or_b32 s2, vcc_lo, s2
	s_and_b32 s2, exec_lo, s2
	s_delay_alu instid0(SALU_CYCLE_1) | instskip(NEXT) | instid1(SALU_CYCLE_1)
	s_or_b32 s31, s2, s31
	s_and_not1_b32 exec_lo, exec_lo, s31
	s_cbranch_execz .LBB19_10
.LBB19_8:                               ;   Parent Loop BB19_4 Depth=1
                                        ; =>  This Inner Loop Header: Depth=2
	v_ashrrev_i32_e32 v13, 31, v12
	v_ashrrev_i32_e32 v17, 31, v16
	s_mov_b32 s2, exec_lo
	s_delay_alu instid0(VALU_DEP_2) | instskip(NEXT) | instid1(VALU_DEP_2)
	v_lshlrev_b64 v[18:19], 2, v[12:13]
	v_lshlrev_b64 v[14:15], 2, v[16:17]
	s_delay_alu instid0(VALU_DEP_2) | instskip(NEXT) | instid1(VALU_DEP_3)
	v_add_co_u32 v17, vcc_lo, s16, v18
	v_add_co_ci_u32_e32 v18, vcc_lo, s17, v19, vcc_lo
	s_delay_alu instid0(VALU_DEP_3) | instskip(NEXT) | instid1(VALU_DEP_4)
	v_add_co_u32 v19, vcc_lo, s6, v14
	v_add_co_ci_u32_e32 v20, vcc_lo, s7, v15, vcc_lo
	global_load_b32 v17, v[17:18], off
	global_load_b32 v18, v[19:20], off
	s_waitcnt vmcnt(0)
	v_cmpx_eq_u32_e64 v17, v18
	s_cbranch_execz .LBB19_7
; %bb.9:                                ;   in Loop: Header=BB19_8 Depth=2
	v_add_co_u32 v14, vcc_lo, s8, v14
	v_add_co_ci_u32_e32 v15, vcc_lo, s9, v15, vcc_lo
	v_lshlrev_b64 v[19:20], 3, v[12:13]
	global_load_b32 v14, v[14:15], off
	v_add_co_u32 v19, vcc_lo, s10, v19
	v_add_co_ci_u32_e32 v20, vcc_lo, s11, v20, vcc_lo
	s_waitcnt vmcnt(0)
	v_ashrrev_i32_e32 v15, 31, v14
	s_delay_alu instid0(VALU_DEP_1) | instskip(NEXT) | instid1(VALU_DEP_1)
	v_lshlrev_b64 v[13:14], 3, v[14:15]
	v_add_co_u32 v13, vcc_lo, s10, v13
	s_delay_alu instid0(VALU_DEP_2)
	v_add_co_ci_u32_e32 v14, vcc_lo, s11, v14, vcc_lo
	s_clause 0x1
	global_load_b64 v[19:20], v[19:20], off
	global_load_b64 v[13:14], v[13:14], off
	s_waitcnt vmcnt(0)
	v_fma_f64 v[10:11], v[19:20], v[13:14], v[10:11]
	s_branch .LBB19_7
.LBB19_10:                              ;   in Loop: Header=BB19_4 Depth=1
	s_or_b32 exec_lo, exec_lo, s31
.LBB19_11:                              ;   in Loop: Header=BB19_4 Depth=1
	s_delay_alu instid0(SALU_CYCLE_1)
	s_or_b32 exec_lo, exec_lo, s30
	s_waitcnt vmcnt(1)
	v_add_f64 v[14:15], v[10:11], -v[8:9]
	s_mov_b32 s30, exec_lo
	v_cmpx_lt_i32_e64 v16, v25
	s_cbranch_execz .LBB19_19
; %bb.12:                               ;   in Loop: Header=BB19_4 Depth=1
	v_ashrrev_i32_e32 v17, 31, v16
	s_mov_b32 s31, 0
                                        ; implicit-def: $sgpr33
                                        ; implicit-def: $sgpr35
                                        ; implicit-def: $sgpr34
	s_delay_alu instid0(VALU_DEP_1) | instskip(NEXT) | instid1(VALU_DEP_1)
	v_lshlrev_b64 v[18:19], 2, v[16:17]
	v_add_co_u32 v18, vcc_lo, s6, v18
	s_delay_alu instid0(VALU_DEP_2)
	v_add_co_ci_u32_e32 v19, vcc_lo, s7, v19, vcc_lo
	s_set_inst_prefetch_distance 0x1
	s_branch .LBB19_14
	.p2align	6
.LBB19_13:                              ;   in Loop: Header=BB19_14 Depth=2
	s_or_b32 exec_lo, exec_lo, s36
	s_delay_alu instid0(SALU_CYCLE_1) | instskip(NEXT) | instid1(SALU_CYCLE_1)
	s_and_b32 s2, exec_lo, s35
	s_or_b32 s31, s2, s31
	s_and_not1_b32 s2, s33, exec_lo
	s_and_b32 s33, s34, exec_lo
	s_delay_alu instid0(SALU_CYCLE_1)
	s_or_b32 s33, s2, s33
	s_and_not1_b32 exec_lo, exec_lo, s31
	s_cbranch_execz .LBB19_16
.LBB19_14:                              ;   Parent Loop BB19_4 Depth=1
                                        ; =>  This Inner Loop Header: Depth=2
	global_load_b32 v13, v[18:19], off
	v_dual_mov_b32 v21, v17 :: v_dual_mov_b32 v20, v16
	s_or_b32 s34, s34, exec_lo
	s_or_b32 s35, s35, exec_lo
	s_mov_b32 s36, exec_lo
                                        ; implicit-def: $vgpr16_vgpr17
	s_waitcnt vmcnt(0)
	v_cmpx_ne_u32_e64 v13, v23
	s_cbranch_execz .LBB19_13
; %bb.15:                               ;   in Loop: Header=BB19_14 Depth=2
	v_add_co_u32 v16, vcc_lo, v20, 1
	v_add_co_ci_u32_e32 v17, vcc_lo, 0, v21, vcc_lo
	v_add_co_u32 v18, s2, v18, 4
	s_delay_alu instid0(VALU_DEP_3) | instskip(SKIP_4) | instid1(SALU_CYCLE_1)
	v_cmp_ge_i32_e32 vcc_lo, v16, v25
	v_add_co_ci_u32_e64 v19, s2, 0, v19, s2
	s_and_not1_b32 s2, s35, exec_lo
	s_and_not1_b32 s34, s34, exec_lo
	s_and_b32 s35, vcc_lo, exec_lo
	s_or_b32 s35, s2, s35
	s_branch .LBB19_13
.LBB19_16:                              ;   in Loop: Header=BB19_4 Depth=1
	s_set_inst_prefetch_distance 0x2
	s_or_b32 exec_lo, exec_lo, s31
	s_and_saveexec_b32 s2, s33
	s_delay_alu instid0(SALU_CYCLE_1)
	s_xor_b32 s2, exec_lo, s2
	s_cbranch_execz .LBB19_18
; %bb.17:                               ;   in Loop: Header=BB19_4 Depth=1
	v_lshlrev_b64 v[16:17], 2, v[20:21]
	s_delay_alu instid0(VALU_DEP_1) | instskip(NEXT) | instid1(VALU_DEP_2)
	v_add_co_u32 v16, vcc_lo, s8, v16
	v_add_co_ci_u32_e32 v17, vcc_lo, s9, v17, vcc_lo
	global_load_b32 v16, v[16:17], off
	s_waitcnt vmcnt(0)
	v_ashrrev_i32_e32 v17, 31, v16
	s_delay_alu instid0(VALU_DEP_1) | instskip(NEXT) | instid1(VALU_DEP_1)
	v_lshlrev_b64 v[16:17], 3, v[16:17]
	v_add_co_u32 v16, vcc_lo, s10, v16
	s_delay_alu instid0(VALU_DEP_2)
	v_add_co_ci_u32_e32 v17, vcc_lo, s11, v17, vcc_lo
	global_load_b64 v[16:17], v[16:17], off
	s_waitcnt vmcnt(0)
	v_add_f64 v[14:15], v[14:15], v[16:17]
.LBB19_18:                              ;   in Loop: Header=BB19_4 Depth=1
	s_or_b32 exec_lo, exec_lo, s2
.LBB19_19:                              ;   in Loop: Header=BB19_4 Depth=1
	s_delay_alu instid0(SALU_CYCLE_1) | instskip(NEXT) | instid1(SALU_CYCLE_1)
	s_or_b32 exec_lo, exec_lo, s30
	s_mov_b32 s30, exec_lo
	v_cmpx_lt_i32_e64 v12, v24
	s_cbranch_execz .LBB19_27
; %bb.20:                               ;   in Loop: Header=BB19_4 Depth=1
	v_ashrrev_i32_e32 v13, 31, v12
	s_mov_b32 s31, 0
                                        ; implicit-def: $sgpr33
                                        ; implicit-def: $sgpr35
                                        ; implicit-def: $sgpr34
	s_delay_alu instid0(VALU_DEP_1) | instskip(NEXT) | instid1(VALU_DEP_1)
	v_lshlrev_b64 v[16:17], 2, v[12:13]
	v_add_co_u32 v16, vcc_lo, s16, v16
	s_delay_alu instid0(VALU_DEP_2)
	v_add_co_ci_u32_e32 v17, vcc_lo, s17, v17, vcc_lo
	s_set_inst_prefetch_distance 0x1
	s_branch .LBB19_22
	.p2align	6
.LBB19_21:                              ;   in Loop: Header=BB19_22 Depth=2
	s_or_b32 exec_lo, exec_lo, s36
	s_delay_alu instid0(SALU_CYCLE_1) | instskip(NEXT) | instid1(SALU_CYCLE_1)
	s_and_b32 s2, exec_lo, s35
	s_or_b32 s31, s2, s31
	s_and_not1_b32 s2, s33, exec_lo
	s_and_b32 s33, s34, exec_lo
	s_delay_alu instid0(SALU_CYCLE_1)
	s_or_b32 s33, s2, s33
	s_and_not1_b32 exec_lo, exec_lo, s31
	s_cbranch_execz .LBB19_24
.LBB19_22:                              ;   Parent Loop BB19_4 Depth=1
                                        ; =>  This Inner Loop Header: Depth=2
	global_load_b32 v20, v[16:17], off
	v_dual_mov_b32 v19, v13 :: v_dual_mov_b32 v18, v12
	s_or_b32 s34, s34, exec_lo
	s_or_b32 s35, s35, exec_lo
	s_mov_b32 s36, exec_lo
                                        ; implicit-def: $vgpr12_vgpr13
	s_waitcnt vmcnt(0)
	v_cmpx_ne_u32_e64 v20, v22
	s_cbranch_execz .LBB19_21
; %bb.23:                               ;   in Loop: Header=BB19_22 Depth=2
	v_add_co_u32 v12, vcc_lo, v18, 1
	v_add_co_ci_u32_e32 v13, vcc_lo, 0, v19, vcc_lo
	v_add_co_u32 v16, s2, v16, 4
	s_delay_alu instid0(VALU_DEP_3) | instskip(SKIP_4) | instid1(SALU_CYCLE_1)
	v_cmp_ge_i32_e32 vcc_lo, v12, v24
	v_add_co_ci_u32_e64 v17, s2, 0, v17, s2
	s_and_not1_b32 s2, s35, exec_lo
	s_and_not1_b32 s34, s34, exec_lo
	s_and_b32 s35, vcc_lo, exec_lo
	s_or_b32 s35, s2, s35
	s_branch .LBB19_21
.LBB19_24:                              ;   in Loop: Header=BB19_4 Depth=1
	s_set_inst_prefetch_distance 0x2
	s_or_b32 exec_lo, exec_lo, s31
	s_and_saveexec_b32 s2, s33
	s_delay_alu instid0(SALU_CYCLE_1)
	s_xor_b32 s2, exec_lo, s2
	s_cbranch_execz .LBB19_26
; %bb.25:                               ;   in Loop: Header=BB19_4 Depth=1
	v_lshlrev_b64 v[12:13], 3, v[18:19]
	s_delay_alu instid0(VALU_DEP_1) | instskip(NEXT) | instid1(VALU_DEP_2)
	v_add_co_u32 v12, vcc_lo, s10, v12
	v_add_co_ci_u32_e32 v13, vcc_lo, s11, v13, vcc_lo
	global_load_b64 v[12:13], v[12:13], off
	s_waitcnt vmcnt(0)
	v_fma_f64 v[14:15], v[12:13], v[6:7], v[14:15]
.LBB19_26:                              ;   in Loop: Header=BB19_4 Depth=1
	s_or_b32 exec_lo, exec_lo, s2
.LBB19_27:                              ;   in Loop: Header=BB19_4 Depth=1
	s_delay_alu instid0(SALU_CYCLE_1) | instskip(SKIP_3) | instid1(VALU_DEP_2)
	s_or_b32 exec_lo, exec_lo, s30
	v_add_f64 v[8:9], v[8:9], -v[10:11]
	v_cmp_gt_i32_e64 s2, v23, v22
	s_waitcnt vmcnt(0)
	v_div_scale_f64 v[10:11], null, v[6:7], v[6:7], v[8:9]
	v_div_scale_f64 v[18:19], vcc_lo, v[8:9], v[6:7], v[8:9]
	s_delay_alu instid0(VALU_DEP_2) | instskip(SKIP_2) | instid1(VALU_DEP_1)
	v_rcp_f64_e32 v[12:13], v[10:11]
	s_waitcnt_depctr 0xfff
	v_fma_f64 v[16:17], -v[10:11], v[12:13], 1.0
	v_fma_f64 v[12:13], v[12:13], v[16:17], v[12:13]
	s_delay_alu instid0(VALU_DEP_1) | instskip(NEXT) | instid1(VALU_DEP_1)
	v_fma_f64 v[16:17], -v[10:11], v[12:13], 1.0
	v_fma_f64 v[12:13], v[12:13], v[16:17], v[12:13]
	s_delay_alu instid0(VALU_DEP_1) | instskip(NEXT) | instid1(VALU_DEP_1)
	v_mul_f64 v[16:17], v[18:19], v[12:13]
	v_fma_f64 v[10:11], -v[10:11], v[16:17], v[18:19]
	s_delay_alu instid0(VALU_DEP_1) | instskip(SKIP_2) | instid1(VALU_DEP_3)
	v_div_fmas_f64 v[10:11], v[10:11], v[12:13], v[16:17]
	v_add_f64 v[12:13], v[6:7], v[14:15]
	v_cmp_eq_u32_e32 vcc_lo, v23, v22
	v_div_fixup_f64 v[10:11], v[10:11], v[6:7], v[8:9]
	s_delay_alu instid0(VALU_DEP_3) | instskip(NEXT) | instid1(VALU_DEP_1)
	v_dual_cndmask_b32 v7, v15, v13 :: v_dual_cndmask_b32 v6, v14, v12
	v_cmp_gt_f64_e64 s30, v[1:2], |v[6:7]|
	s_delay_alu instid0(VALU_DEP_3) | instskip(NEXT) | instid1(VALU_DEP_4)
	v_cndmask_b32_e64 v9, v9, v11, s2
	v_cndmask_b32_e64 v8, v8, v10, s2
	v_cmp_nlg_f64_e64 s2, 0x7ff00000, |v[6:7]|
	s_delay_alu instid0(VALU_DEP_2) | instskip(NEXT) | instid1(VALU_DEP_1)
	v_cmp_class_f64_e64 s33, v[8:9], 0x1f8
	s_and_saveexec_b32 s31, s33
	s_cbranch_execz .LBB19_2
; %bb.28:                               ;   in Loop: Header=BB19_4 Depth=1
	v_add_co_u32 v4, vcc_lo, s10, v4
	v_add_co_ci_u32_e32 v5, vcc_lo, s11, v5, vcc_lo
	global_store_b64 v[4:5], v[8:9], off
	s_branch .LBB19_2
.LBB19_29:
	s_or_b32 exec_lo, exec_lo, s26
	v_mbcnt_lo_u32_b32 v5, -1, 0
	s_delay_alu instid0(VALU_DEP_1) | instskip(SKIP_1) | instid1(VALU_DEP_2)
	v_or_b32_e32 v3, 32, v5
	v_xor_b32_e32 v6, 16, v5
	v_cmp_gt_i32_e32 vcc_lo, 32, v3
	s_delay_alu instid0(VALU_DEP_2) | instskip(NEXT) | instid1(VALU_DEP_1)
	v_cmp_gt_i32_e64 s2, 32, v6
	v_cndmask_b32_e64 v6, v5, v6, s2
	s_delay_alu instid0(VALU_DEP_1) | instskip(NEXT) | instid1(VALU_DEP_1)
	v_dual_cndmask_b32 v3, v5, v3 :: v_dual_lshlrev_b32 v6, 2, v6
	v_lshlrev_b32_e32 v4, 2, v3
	ds_bpermute_b32 v3, v4, v1
	ds_bpermute_b32 v4, v4, v2
	s_waitcnt lgkmcnt(0)
	v_cmp_lt_f64_e32 vcc_lo, v[1:2], v[3:4]
	v_dual_cndmask_b32 v2, v2, v4 :: v_dual_cndmask_b32 v1, v1, v3
	ds_bpermute_b32 v4, v6, v2
	ds_bpermute_b32 v3, v6, v1
	v_xor_b32_e32 v6, 8, v5
	s_delay_alu instid0(VALU_DEP_1) | instskip(NEXT) | instid1(VALU_DEP_1)
	v_cmp_gt_i32_e64 s2, 32, v6
	v_cndmask_b32_e64 v6, v5, v6, s2
	s_waitcnt lgkmcnt(0)
	v_cmp_lt_f64_e32 vcc_lo, v[1:2], v[3:4]
	s_delay_alu instid0(VALU_DEP_2) | instskip(SKIP_4) | instid1(VALU_DEP_1)
	v_dual_cndmask_b32 v1, v1, v3 :: v_dual_lshlrev_b32 v6, 2, v6
	ds_bpermute_b32 v3, v6, v1
	v_cndmask_b32_e32 v2, v2, v4, vcc_lo
	ds_bpermute_b32 v4, v6, v2
	v_xor_b32_e32 v6, 4, v5
	v_cmp_gt_i32_e64 s2, 32, v6
	s_delay_alu instid0(VALU_DEP_1) | instskip(SKIP_2) | instid1(VALU_DEP_2)
	v_cndmask_b32_e64 v6, v5, v6, s2
	s_waitcnt lgkmcnt(0)
	v_cmp_lt_f64_e32 vcc_lo, v[1:2], v[3:4]
	v_dual_cndmask_b32 v1, v1, v3 :: v_dual_lshlrev_b32 v6, 2, v6
	v_cndmask_b32_e32 v2, v2, v4, vcc_lo
	ds_bpermute_b32 v3, v6, v1
	ds_bpermute_b32 v4, v6, v2
	v_xor_b32_e32 v6, 2, v5
	s_delay_alu instid0(VALU_DEP_1) | instskip(NEXT) | instid1(VALU_DEP_1)
	v_cmp_gt_i32_e64 s2, 32, v6
	v_cndmask_b32_e64 v6, v5, v6, s2
	s_waitcnt lgkmcnt(0)
	v_cmp_lt_f64_e32 vcc_lo, v[1:2], v[3:4]
	v_dual_cndmask_b32 v2, v2, v4 :: v_dual_cndmask_b32 v1, v1, v3
	s_delay_alu instid0(VALU_DEP_3) | instskip(SKIP_3) | instid1(VALU_DEP_1)
	v_lshlrev_b32_e32 v6, 2, v6
	ds_bpermute_b32 v4, v6, v2
	ds_bpermute_b32 v3, v6, v1
	v_xor_b32_e32 v6, 1, v5
	v_cmp_gt_i32_e64 s2, 32, v6
	s_delay_alu instid0(VALU_DEP_1) | instskip(SKIP_1) | instid1(VALU_DEP_1)
	v_cndmask_b32_e64 v5, v5, v6, s2
	s_mov_b32 s2, exec_lo
	v_lshlrev_b32_e32 v5, 2, v5
	s_waitcnt lgkmcnt(0)
	v_cmp_lt_f64_e32 vcc_lo, v[1:2], v[3:4]
	v_dual_cndmask_b32 v1, v1, v3 :: v_dual_cndmask_b32 v2, v2, v4
	ds_bpermute_b32 v3, v5, v1
	ds_bpermute_b32 v4, v5, v2
	v_and_b32_e32 v5, 63, v0
	s_delay_alu instid0(VALU_DEP_1)
	v_cmpx_eq_u32_e32 63, v5
	s_cbranch_execz .LBB19_31
; %bb.30:
	s_waitcnt lgkmcnt(0)
	v_cmp_lt_f64_e32 vcc_lo, v[1:2], v[3:4]
	v_lshrrev_b32_e32 v5, 3, v0
	s_delay_alu instid0(VALU_DEP_1)
	v_dual_cndmask_b32 v2, v2, v4 :: v_dual_and_b32 v5, 0x78, v5
	v_cndmask_b32_e32 v1, v1, v3, vcc_lo
	ds_store_b64 v5, v[1:2]
.LBB19_31:
	s_or_b32 exec_lo, exec_lo, s2
	v_lshlrev_b32_e32 v1, 3, v0
	s_mov_b32 s2, exec_lo
	s_waitcnt lgkmcnt(0)
	s_waitcnt_vscnt null, 0x0
	s_barrier
	buffer_gl0_inv
	v_cmpx_gt_u32_e32 8, v0
	s_cbranch_execz .LBB19_33
; %bb.32:
	ds_load_2addr_b64 v[2:5], v1 offset1:8
	s_waitcnt lgkmcnt(0)
	v_cmp_lt_f64_e32 vcc_lo, v[2:3], v[4:5]
	v_dual_cndmask_b32 v3, v3, v5 :: v_dual_cndmask_b32 v2, v2, v4
	ds_store_b64 v1, v[2:3]
.LBB19_33:
	s_or_b32 exec_lo, exec_lo, s2
	s_delay_alu instid0(SALU_CYCLE_1)
	s_mov_b32 s2, exec_lo
	s_waitcnt lgkmcnt(0)
	s_barrier
	buffer_gl0_inv
	v_cmpx_gt_u32_e32 4, v0
	s_cbranch_execz .LBB19_35
; %bb.34:
	ds_load_2addr_b64 v[2:5], v1 offset1:4
	s_waitcnt lgkmcnt(0)
	v_cmp_lt_f64_e32 vcc_lo, v[2:3], v[4:5]
	v_dual_cndmask_b32 v3, v3, v5 :: v_dual_cndmask_b32 v2, v2, v4
	ds_store_b64 v1, v[2:3]
.LBB19_35:
	s_or_b32 exec_lo, exec_lo, s2
	s_delay_alu instid0(SALU_CYCLE_1)
	s_mov_b32 s2, exec_lo
	s_waitcnt lgkmcnt(0)
	s_barrier
	buffer_gl0_inv
	v_cmpx_gt_u32_e32 2, v0
	s_cbranch_execz .LBB19_37
; %bb.36:
	ds_load_2addr_b64 v[2:5], v1 offset1:2
	s_waitcnt lgkmcnt(0)
	v_cmp_lt_f64_e32 vcc_lo, v[2:3], v[4:5]
	v_dual_cndmask_b32 v3, v3, v5 :: v_dual_cndmask_b32 v2, v2, v4
	ds_store_b64 v1, v[2:3]
.LBB19_37:
	s_or_b32 exec_lo, exec_lo, s2
	v_cmp_eq_u32_e32 vcc_lo, 0, v0
	s_waitcnt lgkmcnt(0)
	s_barrier
	buffer_gl0_inv
	s_and_saveexec_b32 s3, vcc_lo
	s_cbranch_execz .LBB19_39
; %bb.38:
	v_mov_b32_e32 v4, 0
	ds_load_b128 v[0:3], v4
	s_waitcnt lgkmcnt(0)
	v_cmp_lt_f64_e64 s2, v[0:1], v[2:3]
	s_delay_alu instid0(VALU_DEP_1)
	v_cndmask_b32_e64 v1, v1, v3, s2
	v_cndmask_b32_e64 v0, v0, v2, s2
	ds_store_b64 v4, v[0:1]
.LBB19_39:
	s_or_b32 exec_lo, exec_lo, s3
	s_waitcnt lgkmcnt(0)
	s_barrier
	buffer_gl0_inv
	s_and_saveexec_b32 s2, vcc_lo
	s_cbranch_execz .LBB19_44
; %bb.40:
	s_load_b128 s[4:7], s[0:1], 0x68
	v_mov_b32_e32 v4, 0
	s_brev_b32 s3, 1
	s_mov_b32 s2, 0
	ds_load_b64 v[0:1], v4
	s_waitcnt lgkmcnt(0)
	s_load_b64 s[0:1], s[6:7], 0x0
	global_load_b64 v[2:3], v4, s[4:5] glc
	s_waitcnt lgkmcnt(0)
	v_div_scale_f64 v[5:6], null, s[0:1], s[0:1], v[0:1]
	s_delay_alu instid0(VALU_DEP_1) | instskip(SKIP_2) | instid1(VALU_DEP_1)
	v_rcp_f64_e32 v[7:8], v[5:6]
	s_waitcnt_depctr 0xfff
	v_fma_f64 v[9:10], -v[5:6], v[7:8], 1.0
	v_fma_f64 v[7:8], v[7:8], v[9:10], v[7:8]
	s_delay_alu instid0(VALU_DEP_1) | instskip(NEXT) | instid1(VALU_DEP_1)
	v_fma_f64 v[9:10], -v[5:6], v[7:8], 1.0
	v_fma_f64 v[7:8], v[7:8], v[9:10], v[7:8]
	v_div_scale_f64 v[9:10], vcc_lo, v[0:1], s[0:1], v[0:1]
	s_delay_alu instid0(VALU_DEP_1) | instskip(NEXT) | instid1(VALU_DEP_1)
	v_mul_f64 v[11:12], v[9:10], v[7:8]
	v_fma_f64 v[5:6], -v[5:6], v[11:12], v[9:10]
	s_waitcnt vmcnt(0)
	v_cmp_eq_u64_e64 s6, s[2:3], v[2:3]
                                        ; implicit-def: $sgpr3
	s_delay_alu instid0(VALU_DEP_2) | instskip(NEXT) | instid1(VALU_DEP_1)
	v_div_fmas_f64 v[5:6], v[5:6], v[7:8], v[11:12]
	v_div_fixup_f64 v[0:1], v[5:6], s[0:1], v[0:1]
                                        ; implicit-def: $sgpr1
	s_delay_alu instid0(VALU_DEP_1)
	v_cmp_eq_f64_e32 vcc_lo, 0, v[0:1]
	s_set_inst_prefetch_distance 0x1
	s_branch .LBB19_42
	.p2align	6
.LBB19_41:                              ;   in Loop: Header=BB19_42 Depth=1
	s_or_b32 exec_lo, exec_lo, s7
	s_delay_alu instid0(SALU_CYCLE_1) | instskip(NEXT) | instid1(SALU_CYCLE_1)
	s_and_b32 s0, exec_lo, s1
	s_or_b32 s2, s0, s2
	s_and_not1_b32 s0, s6, exec_lo
	s_and_b32 s6, s3, exec_lo
	s_delay_alu instid0(SALU_CYCLE_1)
	s_or_b32 s6, s0, s6
	s_and_not1_b32 exec_lo, exec_lo, s2
	s_cbranch_execz .LBB19_44
.LBB19_42:                              ; =>This Inner Loop Header: Depth=1
	v_cmp_lt_f64_e64 s0, v[2:3], v[0:1]
	s_and_b32 s7, vcc_lo, s6
	s_and_not1_b32 s3, s3, exec_lo
	s_or_b32 s1, s1, exec_lo
	s_delay_alu instid0(VALU_DEP_1) | instskip(NEXT) | instid1(SALU_CYCLE_1)
	s_or_b32 s0, s0, s7
	s_and_saveexec_b32 s7, s0
	s_cbranch_execz .LBB19_41
; %bb.43:                               ;   in Loop: Header=BB19_42 Depth=1
	global_atomic_cmpswap_b64 v[5:6], v4, v[0:3], s[4:5] glc
	s_and_not1_b32 s3, s3, exec_lo
	s_and_not1_b32 s1, s1, exec_lo
	s_waitcnt vmcnt(0)
	v_cmp_eq_u64_e64 s0, v[5:6], v[2:3]
	s_delay_alu instid0(VALU_DEP_1) | instskip(SKIP_2) | instid1(SALU_CYCLE_1)
	v_cndmask_b32_e64 v3, v6, v3, s0
	v_cndmask_b32_e64 v2, v5, v2, s0
	s_and_b32 s0, s0, exec_lo
	s_or_b32 s1, s1, s0
	s_delay_alu instid0(VALU_DEP_1) | instskip(SKIP_1) | instid1(VALU_DEP_2)
	v_cmp_class_f64_e64 s6, v[2:3], 32
	v_dual_mov_b32 v2, v5 :: v_dual_mov_b32 v3, v6
	s_and_b32 s6, s6, exec_lo
	s_delay_alu instid0(SALU_CYCLE_1)
	s_or_b32 s3, s3, s6
                                        ; implicit-def: $sgpr6
	s_branch .LBB19_41
.LBB19_44:
	s_set_inst_prefetch_distance 0x2
	s_endpgm
	.section	.rodata,"a",@progbits
	.p2align	6, 0x0
	.amdhsa_kernel _ZN9rocsparseL20kernel_calculate_cooILi1024ELi64ELb1EdiiEEvT4_T3_PKS1_S4_PKT2_21rocsparse_index_base_PKS2_SA_S4_SA_SA_S4_SA_PS5_PNS_15floating_traitsIS5_E6data_tEPKSE_
		.amdhsa_group_segment_fixed_size 128
		.amdhsa_private_segment_fixed_size 0
		.amdhsa_kernarg_size 120
		.amdhsa_user_sgpr_count 15
		.amdhsa_user_sgpr_dispatch_ptr 0
		.amdhsa_user_sgpr_queue_ptr 0
		.amdhsa_user_sgpr_kernarg_segment_ptr 1
		.amdhsa_user_sgpr_dispatch_id 0
		.amdhsa_user_sgpr_private_segment_size 0
		.amdhsa_wavefront_size32 1
		.amdhsa_uses_dynamic_stack 0
		.amdhsa_enable_private_segment 0
		.amdhsa_system_sgpr_workgroup_id_x 1
		.amdhsa_system_sgpr_workgroup_id_y 0
		.amdhsa_system_sgpr_workgroup_id_z 0
		.amdhsa_system_sgpr_workgroup_info 0
		.amdhsa_system_vgpr_workitem_id 0
		.amdhsa_next_free_vgpr 26
		.amdhsa_next_free_sgpr 37
		.amdhsa_reserve_vcc 1
		.amdhsa_float_round_mode_32 0
		.amdhsa_float_round_mode_16_64 0
		.amdhsa_float_denorm_mode_32 3
		.amdhsa_float_denorm_mode_16_64 3
		.amdhsa_dx10_clamp 1
		.amdhsa_ieee_mode 1
		.amdhsa_fp16_overflow 0
		.amdhsa_workgroup_processor_mode 1
		.amdhsa_memory_ordered 1
		.amdhsa_forward_progress 0
		.amdhsa_shared_vgpr_count 0
		.amdhsa_exception_fp_ieee_invalid_op 0
		.amdhsa_exception_fp_denorm_src 0
		.amdhsa_exception_fp_ieee_div_zero 0
		.amdhsa_exception_fp_ieee_overflow 0
		.amdhsa_exception_fp_ieee_underflow 0
		.amdhsa_exception_fp_ieee_inexact 0
		.amdhsa_exception_int_div_zero 0
	.end_amdhsa_kernel
	.section	.text._ZN9rocsparseL20kernel_calculate_cooILi1024ELi64ELb1EdiiEEvT4_T3_PKS1_S4_PKT2_21rocsparse_index_base_PKS2_SA_S4_SA_SA_S4_SA_PS5_PNS_15floating_traitsIS5_E6data_tEPKSE_,"axG",@progbits,_ZN9rocsparseL20kernel_calculate_cooILi1024ELi64ELb1EdiiEEvT4_T3_PKS1_S4_PKT2_21rocsparse_index_base_PKS2_SA_S4_SA_SA_S4_SA_PS5_PNS_15floating_traitsIS5_E6data_tEPKSE_,comdat
.Lfunc_end19:
	.size	_ZN9rocsparseL20kernel_calculate_cooILi1024ELi64ELb1EdiiEEvT4_T3_PKS1_S4_PKT2_21rocsparse_index_base_PKS2_SA_S4_SA_SA_S4_SA_PS5_PNS_15floating_traitsIS5_E6data_tEPKSE_, .Lfunc_end19-_ZN9rocsparseL20kernel_calculate_cooILi1024ELi64ELb1EdiiEEvT4_T3_PKS1_S4_PKT2_21rocsparse_index_base_PKS2_SA_S4_SA_SA_S4_SA_PS5_PNS_15floating_traitsIS5_E6data_tEPKSE_
                                        ; -- End function
	.section	.AMDGPU.csdata,"",@progbits
; Kernel info:
; codeLenInByte = 2796
; NumSgprs: 39
; NumVgprs: 26
; ScratchSize: 0
; MemoryBound: 1
; FloatMode: 240
; IeeeMode: 1
; LDSByteSize: 128 bytes/workgroup (compile time only)
; SGPRBlocks: 4
; VGPRBlocks: 3
; NumSGPRsForWavesPerEU: 39
; NumVGPRsForWavesPerEU: 26
; Occupancy: 16
; WaveLimiterHint : 1
; COMPUTE_PGM_RSRC2:SCRATCH_EN: 0
; COMPUTE_PGM_RSRC2:USER_SGPR: 15
; COMPUTE_PGM_RSRC2:TRAP_HANDLER: 0
; COMPUTE_PGM_RSRC2:TGID_X_EN: 1
; COMPUTE_PGM_RSRC2:TGID_Y_EN: 0
; COMPUTE_PGM_RSRC2:TGID_Z_EN: 0
; COMPUTE_PGM_RSRC2:TIDIG_COMP_CNT: 0
	.section	.text._ZN9rocsparseL16kernel_calculateILi1024ELi1ELb1EdiiEEvT4_T3_PKS2_S4_PKS1_PKT2_21rocsparse_index_base_S4_S4_S6_S4_S4_S6_S4_PS7_PNS_15floating_traitsIS7_E6data_tEPKSE_,"axG",@progbits,_ZN9rocsparseL16kernel_calculateILi1024ELi1ELb1EdiiEEvT4_T3_PKS2_S4_PKS1_PKT2_21rocsparse_index_base_S4_S4_S6_S4_S4_S6_S4_PS7_PNS_15floating_traitsIS7_E6data_tEPKSE_,comdat
	.globl	_ZN9rocsparseL16kernel_calculateILi1024ELi1ELb1EdiiEEvT4_T3_PKS2_S4_PKS1_PKT2_21rocsparse_index_base_S4_S4_S6_S4_S4_S6_S4_PS7_PNS_15floating_traitsIS7_E6data_tEPKSE_ ; -- Begin function _ZN9rocsparseL16kernel_calculateILi1024ELi1ELb1EdiiEEvT4_T3_PKS2_S4_PKS1_PKT2_21rocsparse_index_base_S4_S4_S6_S4_S4_S6_S4_PS7_PNS_15floating_traitsIS7_E6data_tEPKSE_
	.p2align	8
	.type	_ZN9rocsparseL16kernel_calculateILi1024ELi1ELb1EdiiEEvT4_T3_PKS2_S4_PKS1_PKT2_21rocsparse_index_base_S4_S4_S6_S4_S4_S6_S4_PS7_PNS_15floating_traitsIS7_E6data_tEPKSE_,@function
_ZN9rocsparseL16kernel_calculateILi1024ELi1ELb1EdiiEEvT4_T3_PKS2_S4_PKS1_PKT2_21rocsparse_index_base_S4_S4_S6_S4_S4_S6_S4_PS7_PNS_15floating_traitsIS7_E6data_tEPKSE_: ; @_ZN9rocsparseL16kernel_calculateILi1024ELi1ELb1EdiiEEvT4_T3_PKS2_S4_PKS1_PKT2_21rocsparse_index_base_S4_S4_S6_S4_S4_S6_S4_PS7_PNS_15floating_traitsIS7_E6data_tEPKSE_
; %bb.0:
	s_load_b32 s2, s[0:1], 0x0
	v_mov_b32_e32 v2, 0
	v_lshl_or_b32 v1, s15, 10, v0
	v_mov_b32_e32 v3, 0
	s_mov_b32 s24, exec_lo
	s_waitcnt lgkmcnt(0)
	s_delay_alu instid0(VALU_DEP_2)
	v_cmpx_gt_i32_e64 s2, v1
	s_cbranch_execz .LBB20_30
; %bb.1:
	s_load_b128 s[4:7], s[0:1], 0x8
	v_ashrrev_i32_e32 v2, 31, v1
	s_mov_b32 s25, exec_lo
	s_delay_alu instid0(VALU_DEP_1) | instskip(SKIP_1) | instid1(VALU_DEP_1)
	v_lshlrev_b64 v[4:5], 2, v[1:2]
	s_waitcnt lgkmcnt(0)
	v_add_co_u32 v2, vcc_lo, s6, v4
	s_delay_alu instid0(VALU_DEP_2)
	v_add_co_ci_u32_e32 v3, vcc_lo, s7, v5, vcc_lo
	v_add_co_u32 v7, vcc_lo, s4, v4
	v_add_co_ci_u32_e32 v8, vcc_lo, s5, v5, vcc_lo
	global_load_b32 v6, v[2:3], off
	global_load_b32 v7, v[7:8], off
	v_mov_b32_e32 v2, 0
	v_mov_b32_e32 v3, 0
	s_waitcnt vmcnt(0)
	v_cmpx_lt_i32_e64 v7, v6
	s_cbranch_execz .LBB20_29
; %bb.2:
	s_load_b256 s[4:11], s[0:1], 0x30
	s_mov_b32 s26, 0
	s_waitcnt lgkmcnt(0)
	v_add_co_u32 v2, vcc_lo, s6, v4
	v_add_co_ci_u32_e32 v3, vcc_lo, s7, v5, vcc_lo
	v_add_co_u32 v4, vcc_lo, s4, v4
	v_add_co_ci_u32_e32 v5, vcc_lo, s5, v5, vcc_lo
	global_load_b32 v2, v[2:3], off
	global_load_b32 v3, v[4:5], off
	s_clause 0x2
	s_load_b32 s5, s[0:1], 0x28
	s_load_b128 s[20:23], s[0:1], 0x18
	s_load_b256 s[12:19], s[0:1], 0x50
	v_mov_b32_e32 v4, 0
	v_mov_b32_e32 v5, 0
	s_waitcnt lgkmcnt(0)
	v_subrev_nc_u32_e32 v27, s5, v6
	v_subrev_nc_u32_e32 v6, s5, v7
	s_waitcnt vmcnt(1)
	v_subrev_nc_u32_e32 v28, s5, v2
	s_waitcnt vmcnt(0)
	v_subrev_nc_u32_e32 v29, s5, v3
	v_cmp_lt_i32_e64 s2, v3, v2
	v_dual_mov_b32 v2, v4 :: v_dual_mov_b32 v3, v5
	s_branch .LBB20_4
.LBB20_3:                               ;   in Loop: Header=BB20_4 Depth=1
	s_or_b32 exec_lo, exec_lo, s3
	v_add_f64 v[9:10], v[11:12], v[19:20]
	v_cmp_eq_u32_e32 vcc_lo, v1, v8
	s_delay_alu instid0(VALU_DEP_2) | instskip(NEXT) | instid1(VALU_DEP_1)
	v_dual_cndmask_b32 v8, v20, v10 :: v_dual_cndmask_b32 v7, v19, v9
	v_and_b32_e32 v8, 0x7fffffff, v8
	s_delay_alu instid0(VALU_DEP_1) | instskip(SKIP_1) | instid1(VALU_DEP_1)
	v_cmp_nlg_f64_e32 vcc_lo, 0x7ff00000, v[7:8]
	v_cmp_gt_f64_e64 s3, v[2:3], v[7:8]
	s_or_b32 vcc_lo, vcc_lo, s3
	v_dual_cndmask_b32 v3, v8, v3 :: v_dual_add_nc_u32 v6, 1, v6
	v_cndmask_b32_e32 v2, v7, v2, vcc_lo
	s_delay_alu instid0(VALU_DEP_2) | instskip(NEXT) | instid1(VALU_DEP_1)
	v_cmp_ge_i32_e64 s4, v6, v27
	s_or_b32 s26, s4, s26
	s_delay_alu instid0(SALU_CYCLE_1)
	s_and_not1_b32 exec_lo, exec_lo, s26
	s_cbranch_execz .LBB20_28
.LBB20_4:                               ; =>This Loop Header: Depth=1
                                        ;     Child Loop BB20_7 Depth 2
                                        ;     Child Loop BB20_13 Depth 2
	;; [unrolled: 1-line block ×3, first 2 shown]
	v_ashrrev_i32_e32 v7, 31, v6
	s_delay_alu instid0(VALU_DEP_1) | instskip(NEXT) | instid1(VALU_DEP_1)
	v_lshlrev_b64 v[8:9], 2, v[6:7]
	v_add_co_u32 v8, vcc_lo, s20, v8
	s_delay_alu instid0(VALU_DEP_2) | instskip(SKIP_3) | instid1(VALU_DEP_1)
	v_add_co_ci_u32_e32 v9, vcc_lo, s21, v9, vcc_lo
	global_load_b32 v30, v[8:9], off
	s_waitcnt vmcnt(0)
	v_subrev_nc_u32_e32 v8, s5, v30
	v_ashrrev_i32_e32 v9, 31, v8
	s_delay_alu instid0(VALU_DEP_1) | instskip(NEXT) | instid1(VALU_DEP_1)
	v_lshlrev_b64 v[11:12], 2, v[8:9]
	v_add_co_u32 v9, vcc_lo, s6, v11
	s_delay_alu instid0(VALU_DEP_2)
	v_add_co_ci_u32_e32 v10, vcc_lo, s7, v12, vcc_lo
	v_add_co_u32 v15, vcc_lo, s12, v11
	v_add_co_ci_u32_e32 v16, vcc_lo, s13, v12, vcc_lo
	global_load_b32 v13, v[9:10], off
	v_lshlrev_b64 v[9:10], 3, v[6:7]
	v_add_co_u32 v11, vcc_lo, s10, v11
	v_add_co_ci_u32_e32 v12, vcc_lo, s11, v12, vcc_lo
	global_load_b32 v15, v[15:16], off
	global_load_b32 v16, v[11:12], off
	v_add_co_u32 v17, vcc_lo, s22, v9
	v_add_co_ci_u32_e32 v18, vcc_lo, s23, v10, vcc_lo
	s_waitcnt vmcnt(2)
	v_subrev_nc_u32_e32 v13, s5, v13
	s_delay_alu instid0(VALU_DEP_1)
	v_ashrrev_i32_e32 v14, 31, v13
	s_waitcnt vmcnt(1)
	v_subrev_nc_u32_e32 v7, s5, v15
	s_waitcnt vmcnt(0)
	v_subrev_nc_u32_e32 v21, s5, v16
	v_lshlrev_b64 v[13:14], 3, v[13:14]
	s_delay_alu instid0(VALU_DEP_1) | instskip(NEXT) | instid1(VALU_DEP_2)
	v_add_co_u32 v11, vcc_lo, s18, v13
	v_add_co_ci_u32_e32 v12, vcc_lo, s19, v14, vcc_lo
	v_cmp_lt_i32_e32 vcc_lo, v16, v15
	global_load_b64 v[13:14], v[17:18], off
	global_load_b64 v[11:12], v[11:12], off
	v_mov_b32_e32 v17, v29
	v_dual_mov_b32 v16, v5 :: v_dual_mov_b32 v15, v4
	s_and_b32 s3, s2, vcc_lo
	s_delay_alu instid0(SALU_CYCLE_1)
	s_and_saveexec_b32 s4, s3
	s_cbranch_execz .LBB20_10
; %bb.5:                                ;   in Loop: Header=BB20_4 Depth=1
	v_mov_b32_e32 v15, 0
	v_dual_mov_b32 v16, 0 :: v_dual_mov_b32 v17, v29
	s_mov_b32 s27, 0
	s_branch .LBB20_7
.LBB20_6:                               ;   in Loop: Header=BB20_7 Depth=2
	s_or_b32 exec_lo, exec_lo, s3
	v_cmp_le_i32_e32 vcc_lo, v22, v23
	v_add_co_ci_u32_e32 v17, vcc_lo, 0, v17, vcc_lo
	v_cmp_ge_i32_e32 vcc_lo, v22, v23
	v_add_co_ci_u32_e32 v21, vcc_lo, 0, v21, vcc_lo
	s_delay_alu instid0(VALU_DEP_3) | instskip(NEXT) | instid1(VALU_DEP_2)
	v_cmp_ge_i32_e32 vcc_lo, v17, v28
	v_cmp_ge_i32_e64 s3, v21, v7
	s_delay_alu instid0(VALU_DEP_1) | instskip(NEXT) | instid1(SALU_CYCLE_1)
	s_or_b32 s3, vcc_lo, s3
	s_and_b32 s3, exec_lo, s3
	s_delay_alu instid0(SALU_CYCLE_1) | instskip(NEXT) | instid1(SALU_CYCLE_1)
	s_or_b32 s27, s3, s27
	s_and_not1_b32 exec_lo, exec_lo, s27
	s_cbranch_execz .LBB20_9
.LBB20_7:                               ;   Parent Loop BB20_4 Depth=1
                                        ; =>  This Inner Loop Header: Depth=2
	s_delay_alu instid0(VALU_DEP_1) | instskip(SKIP_2) | instid1(VALU_DEP_2)
	v_ashrrev_i32_e32 v18, 31, v17
	v_ashrrev_i32_e32 v22, 31, v21
	s_mov_b32 s3, exec_lo
	v_lshlrev_b64 v[23:24], 2, v[17:18]
	s_delay_alu instid0(VALU_DEP_2) | instskip(NEXT) | instid1(VALU_DEP_2)
	v_lshlrev_b64 v[19:20], 2, v[21:22]
	v_add_co_u32 v22, vcc_lo, s8, v23
	s_delay_alu instid0(VALU_DEP_3) | instskip(NEXT) | instid1(VALU_DEP_3)
	v_add_co_ci_u32_e32 v23, vcc_lo, s9, v24, vcc_lo
	v_add_co_u32 v24, vcc_lo, s14, v19
	s_delay_alu instid0(VALU_DEP_4)
	v_add_co_ci_u32_e32 v25, vcc_lo, s15, v20, vcc_lo
	global_load_b32 v22, v[22:23], off
	global_load_b32 v23, v[24:25], off
	s_waitcnt vmcnt(0)
	v_cmpx_eq_u32_e64 v22, v23
	s_cbranch_execz .LBB20_6
; %bb.8:                                ;   in Loop: Header=BB20_7 Depth=2
	v_add_co_u32 v19, vcc_lo, s16, v19
	v_add_co_ci_u32_e32 v20, vcc_lo, s17, v20, vcc_lo
	v_lshlrev_b64 v[24:25], 3, v[17:18]
	global_load_b32 v19, v[19:20], off
	v_add_co_u32 v24, vcc_lo, s18, v24
	v_add_co_ci_u32_e32 v25, vcc_lo, s19, v25, vcc_lo
	s_waitcnt vmcnt(0)
	v_ashrrev_i32_e32 v20, 31, v19
	s_delay_alu instid0(VALU_DEP_1) | instskip(NEXT) | instid1(VALU_DEP_1)
	v_lshlrev_b64 v[18:19], 3, v[19:20]
	v_add_co_u32 v18, vcc_lo, s18, v18
	s_delay_alu instid0(VALU_DEP_2)
	v_add_co_ci_u32_e32 v19, vcc_lo, s19, v19, vcc_lo
	s_clause 0x1
	global_load_b64 v[24:25], v[24:25], off
	global_load_b64 v[18:19], v[18:19], off
	s_waitcnt vmcnt(0)
	v_fma_f64 v[15:16], v[24:25], v[18:19], v[15:16]
	s_branch .LBB20_6
.LBB20_9:                               ;   in Loop: Header=BB20_4 Depth=1
	s_or_b32 exec_lo, exec_lo, s27
.LBB20_10:                              ;   in Loop: Header=BB20_4 Depth=1
	s_delay_alu instid0(SALU_CYCLE_1)
	s_or_b32 exec_lo, exec_lo, s4
	s_waitcnt vmcnt(1)
	v_add_f64 v[19:20], v[15:16], -v[13:14]
	s_mov_b32 s4, exec_lo
	v_cmpx_lt_i32_e64 v21, v7
	s_cbranch_execz .LBB20_18
; %bb.11:                               ;   in Loop: Header=BB20_4 Depth=1
	v_ashrrev_i32_e32 v22, 31, v21
	s_mov_b32 s27, 0
                                        ; implicit-def: $sgpr28
                                        ; implicit-def: $sgpr30
                                        ; implicit-def: $sgpr29
	s_delay_alu instid0(VALU_DEP_1) | instskip(NEXT) | instid1(VALU_DEP_1)
	v_lshlrev_b64 v[23:24], 2, v[21:22]
	v_add_co_u32 v23, vcc_lo, s14, v23
	s_delay_alu instid0(VALU_DEP_2)
	v_add_co_ci_u32_e32 v24, vcc_lo, s15, v24, vcc_lo
	s_set_inst_prefetch_distance 0x1
	s_branch .LBB20_13
	.p2align	6
.LBB20_12:                              ;   in Loop: Header=BB20_13 Depth=2
	s_or_b32 exec_lo, exec_lo, s31
	s_delay_alu instid0(SALU_CYCLE_1) | instskip(NEXT) | instid1(SALU_CYCLE_1)
	s_and_b32 s3, exec_lo, s30
	s_or_b32 s27, s3, s27
	s_and_not1_b32 s3, s28, exec_lo
	s_and_b32 s28, s29, exec_lo
	s_delay_alu instid0(SALU_CYCLE_1)
	s_or_b32 s28, s3, s28
	s_and_not1_b32 exec_lo, exec_lo, s27
	s_cbranch_execz .LBB20_15
.LBB20_13:                              ;   Parent Loop BB20_4 Depth=1
                                        ; =>  This Inner Loop Header: Depth=2
	global_load_b32 v18, v[23:24], off
	v_dual_mov_b32 v26, v22 :: v_dual_mov_b32 v25, v21
	s_or_b32 s29, s29, exec_lo
	s_or_b32 s30, s30, exec_lo
	s_mov_b32 s31, exec_lo
                                        ; implicit-def: $vgpr21_vgpr22
	s_waitcnt vmcnt(0)
	v_subrev_nc_u32_e32 v18, s5, v18
	s_delay_alu instid0(VALU_DEP_1)
	v_cmpx_ne_u32_e64 v18, v1
	s_cbranch_execz .LBB20_12
; %bb.14:                               ;   in Loop: Header=BB20_13 Depth=2
	v_add_co_u32 v21, vcc_lo, v25, 1
	v_add_co_ci_u32_e32 v22, vcc_lo, 0, v26, vcc_lo
	v_add_co_u32 v23, s3, v23, 4
	s_delay_alu instid0(VALU_DEP_3) | instskip(SKIP_4) | instid1(SALU_CYCLE_1)
	v_cmp_ge_i32_e32 vcc_lo, v21, v7
	v_add_co_ci_u32_e64 v24, s3, 0, v24, s3
	s_and_not1_b32 s3, s30, exec_lo
	s_and_not1_b32 s29, s29, exec_lo
	s_and_b32 s30, vcc_lo, exec_lo
	s_or_b32 s30, s3, s30
	s_branch .LBB20_12
.LBB20_15:                              ;   in Loop: Header=BB20_4 Depth=1
	s_set_inst_prefetch_distance 0x2
	s_or_b32 exec_lo, exec_lo, s27
	s_and_saveexec_b32 s3, s28
	s_delay_alu instid0(SALU_CYCLE_1)
	s_xor_b32 s3, exec_lo, s3
	s_cbranch_execz .LBB20_17
; %bb.16:                               ;   in Loop: Header=BB20_4 Depth=1
	v_lshlrev_b64 v[21:22], 2, v[25:26]
	s_delay_alu instid0(VALU_DEP_1) | instskip(NEXT) | instid1(VALU_DEP_2)
	v_add_co_u32 v21, vcc_lo, s16, v21
	v_add_co_ci_u32_e32 v22, vcc_lo, s17, v22, vcc_lo
	global_load_b32 v21, v[21:22], off
	s_waitcnt vmcnt(0)
	v_ashrrev_i32_e32 v22, 31, v21
	s_delay_alu instid0(VALU_DEP_1) | instskip(NEXT) | instid1(VALU_DEP_1)
	v_lshlrev_b64 v[21:22], 3, v[21:22]
	v_add_co_u32 v21, vcc_lo, s18, v21
	s_delay_alu instid0(VALU_DEP_2)
	v_add_co_ci_u32_e32 v22, vcc_lo, s19, v22, vcc_lo
	global_load_b64 v[21:22], v[21:22], off
	s_waitcnt vmcnt(0)
	v_add_f64 v[19:20], v[19:20], v[21:22]
.LBB20_17:                              ;   in Loop: Header=BB20_4 Depth=1
	s_or_b32 exec_lo, exec_lo, s3
.LBB20_18:                              ;   in Loop: Header=BB20_4 Depth=1
	s_delay_alu instid0(SALU_CYCLE_1) | instskip(NEXT) | instid1(SALU_CYCLE_1)
	s_or_b32 exec_lo, exec_lo, s4
	s_mov_b32 s4, exec_lo
	v_cmpx_lt_i32_e64 v17, v28
	s_cbranch_execz .LBB20_26
; %bb.19:                               ;   in Loop: Header=BB20_4 Depth=1
	v_ashrrev_i32_e32 v18, 31, v17
	s_mov_b32 s27, 0
                                        ; implicit-def: $sgpr28
                                        ; implicit-def: $sgpr30
                                        ; implicit-def: $sgpr29
	s_delay_alu instid0(VALU_DEP_1) | instskip(NEXT) | instid1(VALU_DEP_1)
	v_lshlrev_b64 v[21:22], 2, v[17:18]
	v_add_co_u32 v21, vcc_lo, s8, v21
	s_delay_alu instid0(VALU_DEP_2)
	v_add_co_ci_u32_e32 v22, vcc_lo, s9, v22, vcc_lo
	s_set_inst_prefetch_distance 0x1
	s_branch .LBB20_21
	.p2align	6
.LBB20_20:                              ;   in Loop: Header=BB20_21 Depth=2
	s_or_b32 exec_lo, exec_lo, s31
	s_delay_alu instid0(SALU_CYCLE_1) | instskip(NEXT) | instid1(SALU_CYCLE_1)
	s_and_b32 s3, exec_lo, s30
	s_or_b32 s27, s3, s27
	s_and_not1_b32 s3, s28, exec_lo
	s_and_b32 s28, s29, exec_lo
	s_delay_alu instid0(SALU_CYCLE_1)
	s_or_b32 s28, s3, s28
	s_and_not1_b32 exec_lo, exec_lo, s27
	s_cbranch_execz .LBB20_23
.LBB20_21:                              ;   Parent Loop BB20_4 Depth=1
                                        ; =>  This Inner Loop Header: Depth=2
	global_load_b32 v7, v[21:22], off
	v_dual_mov_b32 v24, v18 :: v_dual_mov_b32 v23, v17
	s_or_b32 s29, s29, exec_lo
	s_or_b32 s30, s30, exec_lo
	s_mov_b32 s31, exec_lo
                                        ; implicit-def: $vgpr17_vgpr18
	s_waitcnt vmcnt(0)
	v_cmpx_ne_u32_e64 v7, v30
	s_cbranch_execz .LBB20_20
; %bb.22:                               ;   in Loop: Header=BB20_21 Depth=2
	v_add_co_u32 v17, vcc_lo, v23, 1
	v_add_co_ci_u32_e32 v18, vcc_lo, 0, v24, vcc_lo
	v_add_co_u32 v21, s3, v21, 4
	s_delay_alu instid0(VALU_DEP_3) | instskip(SKIP_4) | instid1(SALU_CYCLE_1)
	v_cmp_ge_i32_e32 vcc_lo, v17, v28
	v_add_co_ci_u32_e64 v22, s3, 0, v22, s3
	s_and_not1_b32 s3, s30, exec_lo
	s_and_not1_b32 s29, s29, exec_lo
	s_and_b32 s30, vcc_lo, exec_lo
	s_or_b32 s30, s3, s30
	s_branch .LBB20_20
.LBB20_23:                              ;   in Loop: Header=BB20_4 Depth=1
	s_set_inst_prefetch_distance 0x2
	s_or_b32 exec_lo, exec_lo, s27
	s_and_saveexec_b32 s3, s28
	s_delay_alu instid0(SALU_CYCLE_1)
	s_xor_b32 s3, exec_lo, s3
	s_cbranch_execz .LBB20_25
; %bb.24:                               ;   in Loop: Header=BB20_4 Depth=1
	v_lshlrev_b64 v[17:18], 3, v[23:24]
	s_delay_alu instid0(VALU_DEP_1) | instskip(NEXT) | instid1(VALU_DEP_2)
	v_add_co_u32 v17, vcc_lo, s18, v17
	v_add_co_ci_u32_e32 v18, vcc_lo, s19, v18, vcc_lo
	global_load_b64 v[17:18], v[17:18], off
	s_waitcnt vmcnt(0)
	v_fma_f64 v[19:20], v[17:18], v[11:12], v[19:20]
.LBB20_25:                              ;   in Loop: Header=BB20_4 Depth=1
	s_or_b32 exec_lo, exec_lo, s3
.LBB20_26:                              ;   in Loop: Header=BB20_4 Depth=1
	s_delay_alu instid0(SALU_CYCLE_1) | instskip(SKIP_2) | instid1(VALU_DEP_1)
	s_or_b32 exec_lo, exec_lo, s4
	v_add_f64 v[13:14], v[13:14], -v[15:16]
	s_waitcnt vmcnt(0)
	v_div_scale_f64 v[15:16], null, v[11:12], v[11:12], v[13:14]
	v_div_scale_f64 v[23:24], vcc_lo, v[13:14], v[11:12], v[13:14]
	s_delay_alu instid0(VALU_DEP_2) | instskip(SKIP_2) | instid1(VALU_DEP_1)
	v_rcp_f64_e32 v[17:18], v[15:16]
	s_waitcnt_depctr 0xfff
	v_fma_f64 v[21:22], -v[15:16], v[17:18], 1.0
	v_fma_f64 v[17:18], v[17:18], v[21:22], v[17:18]
	s_delay_alu instid0(VALU_DEP_1) | instskip(NEXT) | instid1(VALU_DEP_1)
	v_fma_f64 v[21:22], -v[15:16], v[17:18], 1.0
	v_fma_f64 v[17:18], v[17:18], v[21:22], v[17:18]
	s_delay_alu instid0(VALU_DEP_1) | instskip(NEXT) | instid1(VALU_DEP_1)
	v_mul_f64 v[21:22], v[23:24], v[17:18]
	v_fma_f64 v[15:16], -v[15:16], v[21:22], v[23:24]
	s_delay_alu instid0(VALU_DEP_1) | instskip(SKIP_1) | instid1(VALU_DEP_2)
	v_div_fmas_f64 v[15:16], v[15:16], v[17:18], v[21:22]
	v_cmp_gt_i32_e32 vcc_lo, v1, v8
	v_div_fixup_f64 v[15:16], v[15:16], v[11:12], v[13:14]
	s_delay_alu instid0(VALU_DEP_1) | instskip(NEXT) | instid1(VALU_DEP_1)
	v_dual_cndmask_b32 v14, v14, v16 :: v_dual_cndmask_b32 v13, v13, v15
	v_cmp_class_f64_e64 s4, v[13:14], 0x1f8
	s_delay_alu instid0(VALU_DEP_1)
	s_and_saveexec_b32 s3, s4
	s_cbranch_execz .LBB20_3
; %bb.27:                               ;   in Loop: Header=BB20_4 Depth=1
	v_add_co_u32 v9, vcc_lo, s18, v9
	v_add_co_ci_u32_e32 v10, vcc_lo, s19, v10, vcc_lo
	global_store_b64 v[9:10], v[13:14], off
	s_branch .LBB20_3
.LBB20_28:
	s_or_b32 exec_lo, exec_lo, s26
.LBB20_29:
	s_delay_alu instid0(SALU_CYCLE_1)
	s_or_b32 exec_lo, exec_lo, s25
.LBB20_30:
	s_delay_alu instid0(SALU_CYCLE_1)
	s_or_b32 exec_lo, exec_lo, s24
	v_lshlrev_b32_e32 v1, 3, v0
	s_mov_b32 s2, exec_lo
	ds_store_b64 v1, v[2:3]
	s_waitcnt lgkmcnt(0)
	s_waitcnt_vscnt null, 0x0
	s_barrier
	buffer_gl0_inv
	v_cmpx_gt_u32_e32 0x200, v0
	s_cbranch_execz .LBB20_32
; %bb.31:
	ds_load_2addr_stride64_b64 v[2:5], v1 offset1:8
	s_waitcnt lgkmcnt(0)
	v_cmp_lt_f64_e32 vcc_lo, v[2:3], v[4:5]
	v_dual_cndmask_b32 v3, v3, v5 :: v_dual_cndmask_b32 v2, v2, v4
	ds_store_b64 v1, v[2:3]
.LBB20_32:
	s_or_b32 exec_lo, exec_lo, s2
	s_delay_alu instid0(SALU_CYCLE_1)
	s_mov_b32 s2, exec_lo
	s_waitcnt lgkmcnt(0)
	s_barrier
	buffer_gl0_inv
	v_cmpx_gt_u32_e32 0x100, v0
	s_cbranch_execz .LBB20_34
; %bb.33:
	ds_load_2addr_stride64_b64 v[2:5], v1 offset1:4
	s_waitcnt lgkmcnt(0)
	v_cmp_lt_f64_e32 vcc_lo, v[2:3], v[4:5]
	v_dual_cndmask_b32 v3, v3, v5 :: v_dual_cndmask_b32 v2, v2, v4
	ds_store_b64 v1, v[2:3]
.LBB20_34:
	s_or_b32 exec_lo, exec_lo, s2
	s_delay_alu instid0(SALU_CYCLE_1)
	s_mov_b32 s2, exec_lo
	s_waitcnt lgkmcnt(0)
	;; [unrolled: 15-line block ×4, first 2 shown]
	s_barrier
	buffer_gl0_inv
	v_cmpx_gt_u32_e32 32, v0
	s_cbranch_execz .LBB20_40
; %bb.39:
	ds_load_2addr_b64 v[2:5], v1 offset1:32
	s_waitcnt lgkmcnt(0)
	v_cmp_lt_f64_e32 vcc_lo, v[2:3], v[4:5]
	v_dual_cndmask_b32 v3, v3, v5 :: v_dual_cndmask_b32 v2, v2, v4
	ds_store_b64 v1, v[2:3]
.LBB20_40:
	s_or_b32 exec_lo, exec_lo, s2
	s_delay_alu instid0(SALU_CYCLE_1)
	s_mov_b32 s2, exec_lo
	s_waitcnt lgkmcnt(0)
	s_barrier
	buffer_gl0_inv
	v_cmpx_gt_u32_e32 16, v0
	s_cbranch_execz .LBB20_42
; %bb.41:
	ds_load_2addr_b64 v[2:5], v1 offset1:16
	s_waitcnt lgkmcnt(0)
	v_cmp_lt_f64_e32 vcc_lo, v[2:3], v[4:5]
	v_dual_cndmask_b32 v3, v3, v5 :: v_dual_cndmask_b32 v2, v2, v4
	ds_store_b64 v1, v[2:3]
.LBB20_42:
	s_or_b32 exec_lo, exec_lo, s2
	s_delay_alu instid0(SALU_CYCLE_1)
	s_mov_b32 s2, exec_lo
	s_waitcnt lgkmcnt(0)
	;; [unrolled: 15-line block ×4, first 2 shown]
	s_barrier
	buffer_gl0_inv
	v_cmpx_gt_u32_e32 2, v0
	s_cbranch_execz .LBB20_48
; %bb.47:
	ds_load_2addr_b64 v[2:5], v1 offset1:2
	s_waitcnt lgkmcnt(0)
	v_cmp_lt_f64_e32 vcc_lo, v[2:3], v[4:5]
	v_dual_cndmask_b32 v3, v3, v5 :: v_dual_cndmask_b32 v2, v2, v4
	ds_store_b64 v1, v[2:3]
.LBB20_48:
	s_or_b32 exec_lo, exec_lo, s2
	v_cmp_eq_u32_e32 vcc_lo, 0, v0
	s_waitcnt lgkmcnt(0)
	s_barrier
	buffer_gl0_inv
	s_and_saveexec_b32 s3, vcc_lo
	s_cbranch_execz .LBB20_50
; %bb.49:
	v_mov_b32_e32 v4, 0
	ds_load_b128 v[0:3], v4
	s_waitcnt lgkmcnt(0)
	v_cmp_lt_f64_e64 s2, v[0:1], v[2:3]
	s_delay_alu instid0(VALU_DEP_1)
	v_cndmask_b32_e64 v1, v1, v3, s2
	v_cndmask_b32_e64 v0, v0, v2, s2
	ds_store_b64 v4, v[0:1]
.LBB20_50:
	s_or_b32 exec_lo, exec_lo, s3
	s_waitcnt lgkmcnt(0)
	s_barrier
	buffer_gl0_inv
	s_and_saveexec_b32 s2, vcc_lo
	s_cbranch_execz .LBB20_55
; %bb.51:
	s_load_b128 s[4:7], s[0:1], 0x70
	v_mov_b32_e32 v4, 0
	s_brev_b32 s3, 1
	s_mov_b32 s2, 0
	ds_load_b64 v[0:1], v4
	s_waitcnt lgkmcnt(0)
	s_load_b64 s[0:1], s[6:7], 0x0
	global_load_b64 v[2:3], v4, s[4:5] glc
	s_waitcnt lgkmcnt(0)
	v_div_scale_f64 v[5:6], null, s[0:1], s[0:1], v[0:1]
	s_delay_alu instid0(VALU_DEP_1) | instskip(SKIP_2) | instid1(VALU_DEP_1)
	v_rcp_f64_e32 v[7:8], v[5:6]
	s_waitcnt_depctr 0xfff
	v_fma_f64 v[9:10], -v[5:6], v[7:8], 1.0
	v_fma_f64 v[7:8], v[7:8], v[9:10], v[7:8]
	s_delay_alu instid0(VALU_DEP_1) | instskip(NEXT) | instid1(VALU_DEP_1)
	v_fma_f64 v[9:10], -v[5:6], v[7:8], 1.0
	v_fma_f64 v[7:8], v[7:8], v[9:10], v[7:8]
	v_div_scale_f64 v[9:10], vcc_lo, v[0:1], s[0:1], v[0:1]
	s_delay_alu instid0(VALU_DEP_1) | instskip(NEXT) | instid1(VALU_DEP_1)
	v_mul_f64 v[11:12], v[9:10], v[7:8]
	v_fma_f64 v[5:6], -v[5:6], v[11:12], v[9:10]
	s_waitcnt vmcnt(0)
	v_cmp_eq_u64_e64 s6, s[2:3], v[2:3]
                                        ; implicit-def: $sgpr3
	s_delay_alu instid0(VALU_DEP_2) | instskip(NEXT) | instid1(VALU_DEP_1)
	v_div_fmas_f64 v[5:6], v[5:6], v[7:8], v[11:12]
	v_div_fixup_f64 v[0:1], v[5:6], s[0:1], v[0:1]
                                        ; implicit-def: $sgpr1
	s_delay_alu instid0(VALU_DEP_1)
	v_cmp_eq_f64_e32 vcc_lo, 0, v[0:1]
	s_set_inst_prefetch_distance 0x1
	s_branch .LBB20_53
	.p2align	6
.LBB20_52:                              ;   in Loop: Header=BB20_53 Depth=1
	s_or_b32 exec_lo, exec_lo, s7
	s_delay_alu instid0(SALU_CYCLE_1) | instskip(NEXT) | instid1(SALU_CYCLE_1)
	s_and_b32 s0, exec_lo, s1
	s_or_b32 s2, s0, s2
	s_and_not1_b32 s0, s6, exec_lo
	s_and_b32 s6, s3, exec_lo
	s_delay_alu instid0(SALU_CYCLE_1)
	s_or_b32 s6, s0, s6
	s_and_not1_b32 exec_lo, exec_lo, s2
	s_cbranch_execz .LBB20_55
.LBB20_53:                              ; =>This Inner Loop Header: Depth=1
	v_cmp_lt_f64_e64 s0, v[2:3], v[0:1]
	s_and_b32 s7, vcc_lo, s6
	s_and_not1_b32 s3, s3, exec_lo
	s_or_b32 s1, s1, exec_lo
	s_delay_alu instid0(VALU_DEP_1) | instskip(NEXT) | instid1(SALU_CYCLE_1)
	s_or_b32 s0, s0, s7
	s_and_saveexec_b32 s7, s0
	s_cbranch_execz .LBB20_52
; %bb.54:                               ;   in Loop: Header=BB20_53 Depth=1
	global_atomic_cmpswap_b64 v[5:6], v4, v[0:3], s[4:5] glc
	s_and_not1_b32 s3, s3, exec_lo
	s_and_not1_b32 s1, s1, exec_lo
	s_waitcnt vmcnt(0)
	v_cmp_eq_u64_e64 s0, v[5:6], v[2:3]
	s_delay_alu instid0(VALU_DEP_1) | instskip(SKIP_2) | instid1(SALU_CYCLE_1)
	v_cndmask_b32_e64 v3, v6, v3, s0
	v_cndmask_b32_e64 v2, v5, v2, s0
	s_and_b32 s0, s0, exec_lo
	s_or_b32 s1, s1, s0
	s_delay_alu instid0(VALU_DEP_1) | instskip(SKIP_1) | instid1(VALU_DEP_2)
	v_cmp_class_f64_e64 s6, v[2:3], 32
	v_dual_mov_b32 v2, v5 :: v_dual_mov_b32 v3, v6
	s_and_b32 s6, s6, exec_lo
	s_delay_alu instid0(SALU_CYCLE_1)
	s_or_b32 s3, s3, s6
                                        ; implicit-def: $sgpr6
	s_branch .LBB20_52
.LBB20_55:
	s_set_inst_prefetch_distance 0x2
	s_endpgm
	.section	.rodata,"a",@progbits
	.p2align	6, 0x0
	.amdhsa_kernel _ZN9rocsparseL16kernel_calculateILi1024ELi1ELb1EdiiEEvT4_T3_PKS2_S4_PKS1_PKT2_21rocsparse_index_base_S4_S4_S6_S4_S4_S6_S4_PS7_PNS_15floating_traitsIS7_E6data_tEPKSE_
		.amdhsa_group_segment_fixed_size 8192
		.amdhsa_private_segment_fixed_size 0
		.amdhsa_kernarg_size 128
		.amdhsa_user_sgpr_count 15
		.amdhsa_user_sgpr_dispatch_ptr 0
		.amdhsa_user_sgpr_queue_ptr 0
		.amdhsa_user_sgpr_kernarg_segment_ptr 1
		.amdhsa_user_sgpr_dispatch_id 0
		.amdhsa_user_sgpr_private_segment_size 0
		.amdhsa_wavefront_size32 1
		.amdhsa_uses_dynamic_stack 0
		.amdhsa_enable_private_segment 0
		.amdhsa_system_sgpr_workgroup_id_x 1
		.amdhsa_system_sgpr_workgroup_id_y 0
		.amdhsa_system_sgpr_workgroup_id_z 0
		.amdhsa_system_sgpr_workgroup_info 0
		.amdhsa_system_vgpr_workitem_id 0
		.amdhsa_next_free_vgpr 31
		.amdhsa_next_free_sgpr 32
		.amdhsa_reserve_vcc 1
		.amdhsa_float_round_mode_32 0
		.amdhsa_float_round_mode_16_64 0
		.amdhsa_float_denorm_mode_32 3
		.amdhsa_float_denorm_mode_16_64 3
		.amdhsa_dx10_clamp 1
		.amdhsa_ieee_mode 1
		.amdhsa_fp16_overflow 0
		.amdhsa_workgroup_processor_mode 1
		.amdhsa_memory_ordered 1
		.amdhsa_forward_progress 0
		.amdhsa_shared_vgpr_count 0
		.amdhsa_exception_fp_ieee_invalid_op 0
		.amdhsa_exception_fp_denorm_src 0
		.amdhsa_exception_fp_ieee_div_zero 0
		.amdhsa_exception_fp_ieee_overflow 0
		.amdhsa_exception_fp_ieee_underflow 0
		.amdhsa_exception_fp_ieee_inexact 0
		.amdhsa_exception_int_div_zero 0
	.end_amdhsa_kernel
	.section	.text._ZN9rocsparseL16kernel_calculateILi1024ELi1ELb1EdiiEEvT4_T3_PKS2_S4_PKS1_PKT2_21rocsparse_index_base_S4_S4_S6_S4_S4_S6_S4_PS7_PNS_15floating_traitsIS7_E6data_tEPKSE_,"axG",@progbits,_ZN9rocsparseL16kernel_calculateILi1024ELi1ELb1EdiiEEvT4_T3_PKS2_S4_PKS1_PKT2_21rocsparse_index_base_S4_S4_S6_S4_S4_S6_S4_PS7_PNS_15floating_traitsIS7_E6data_tEPKSE_,comdat
.Lfunc_end20:
	.size	_ZN9rocsparseL16kernel_calculateILi1024ELi1ELb1EdiiEEvT4_T3_PKS2_S4_PKS1_PKT2_21rocsparse_index_base_S4_S4_S6_S4_S4_S6_S4_PS7_PNS_15floating_traitsIS7_E6data_tEPKSE_, .Lfunc_end20-_ZN9rocsparseL16kernel_calculateILi1024ELi1ELb1EdiiEEvT4_T3_PKS2_S4_PKS1_PKT2_21rocsparse_index_base_S4_S4_S6_S4_S4_S6_S4_PS7_PNS_15floating_traitsIS7_E6data_tEPKSE_
                                        ; -- End function
	.section	.AMDGPU.csdata,"",@progbits
; Kernel info:
; codeLenInByte = 2876
; NumSgprs: 34
; NumVgprs: 31
; ScratchSize: 0
; MemoryBound: 1
; FloatMode: 240
; IeeeMode: 1
; LDSByteSize: 8192 bytes/workgroup (compile time only)
; SGPRBlocks: 4
; VGPRBlocks: 3
; NumSGPRsForWavesPerEU: 34
; NumVGPRsForWavesPerEU: 31
; Occupancy: 16
; WaveLimiterHint : 1
; COMPUTE_PGM_RSRC2:SCRATCH_EN: 0
; COMPUTE_PGM_RSRC2:USER_SGPR: 15
; COMPUTE_PGM_RSRC2:TRAP_HANDLER: 0
; COMPUTE_PGM_RSRC2:TGID_X_EN: 1
; COMPUTE_PGM_RSRC2:TGID_Y_EN: 0
; COMPUTE_PGM_RSRC2:TGID_Z_EN: 0
; COMPUTE_PGM_RSRC2:TIDIG_COMP_CNT: 0
	.section	.text._ZN9rocsparseL16kernel_calculateILi1024ELi2ELb1EdiiEEvT4_T3_PKS2_S4_PKS1_PKT2_21rocsparse_index_base_S4_S4_S6_S4_S4_S6_S4_PS7_PNS_15floating_traitsIS7_E6data_tEPKSE_,"axG",@progbits,_ZN9rocsparseL16kernel_calculateILi1024ELi2ELb1EdiiEEvT4_T3_PKS2_S4_PKS1_PKT2_21rocsparse_index_base_S4_S4_S6_S4_S4_S6_S4_PS7_PNS_15floating_traitsIS7_E6data_tEPKSE_,comdat
	.globl	_ZN9rocsparseL16kernel_calculateILi1024ELi2ELb1EdiiEEvT4_T3_PKS2_S4_PKS1_PKT2_21rocsparse_index_base_S4_S4_S6_S4_S4_S6_S4_PS7_PNS_15floating_traitsIS7_E6data_tEPKSE_ ; -- Begin function _ZN9rocsparseL16kernel_calculateILi1024ELi2ELb1EdiiEEvT4_T3_PKS2_S4_PKS1_PKT2_21rocsparse_index_base_S4_S4_S6_S4_S4_S6_S4_PS7_PNS_15floating_traitsIS7_E6data_tEPKSE_
	.p2align	8
	.type	_ZN9rocsparseL16kernel_calculateILi1024ELi2ELb1EdiiEEvT4_T3_PKS2_S4_PKS1_PKT2_21rocsparse_index_base_S4_S4_S6_S4_S4_S6_S4_PS7_PNS_15floating_traitsIS7_E6data_tEPKSE_,@function
_ZN9rocsparseL16kernel_calculateILi1024ELi2ELb1EdiiEEvT4_T3_PKS2_S4_PKS1_PKT2_21rocsparse_index_base_S4_S4_S6_S4_S4_S6_S4_PS7_PNS_15floating_traitsIS7_E6data_tEPKSE_: ; @_ZN9rocsparseL16kernel_calculateILi1024ELi2ELb1EdiiEEvT4_T3_PKS2_S4_PKS1_PKT2_21rocsparse_index_base_S4_S4_S6_S4_S4_S6_S4_PS7_PNS_15floating_traitsIS7_E6data_tEPKSE_
; %bb.0:
	s_load_b32 s29, s[0:1], 0x0
	v_lshrrev_b32_e32 v33, 1, v0
	v_dual_mov_b32 v1, 0 :: v_dual_and_b32 v34, 1, v0
	v_mov_b32_e32 v2, 0
	s_mov_b32 s28, exec_lo
	s_delay_alu instid0(VALU_DEP_3) | instskip(SKIP_1) | instid1(VALU_DEP_1)
	v_lshl_or_b32 v3, s15, 10, v33
	s_waitcnt lgkmcnt(0)
	v_cmpx_gt_i32_e64 s29, v3
	s_cbranch_execz .LBB21_60
; %bb.1:
	s_load_b256 s[4:11], s[0:1], 0x8
	v_ashrrev_i32_e32 v4, 31, v3
	s_delay_alu instid0(VALU_DEP_1) | instskip(SKIP_1) | instid1(VALU_DEP_1)
	v_lshlrev_b64 v[4:5], 2, v[3:4]
	s_waitcnt lgkmcnt(0)
	v_add_co_u32 v6, vcc_lo, s6, v4
	s_delay_alu instid0(VALU_DEP_2)
	v_add_co_ci_u32_e32 v7, vcc_lo, s7, v5, vcc_lo
	v_add_co_u32 v8, vcc_lo, s4, v4
	v_add_co_ci_u32_e32 v9, vcc_lo, s5, v5, vcc_lo
	s_mov_b32 s6, exec_lo
	global_load_b32 v1, v[6:7], off
	global_load_b32 v2, v[8:9], off
	s_clause 0x2
	s_load_b32 s5, s[0:1], 0x28
	s_load_b256 s[12:19], s[0:1], 0x50
	s_load_b256 s[20:27], s[0:1], 0x30
	s_waitcnt lgkmcnt(0)
	v_subrev_nc_u32_e32 v35, s5, v34
	s_waitcnt vmcnt(1)
	v_subrev_nc_u32_e32 v36, s5, v1
	s_waitcnt vmcnt(0)
	s_delay_alu instid0(VALU_DEP_2) | instskip(SKIP_1) | instid1(VALU_DEP_2)
	v_dual_mov_b32 v1, 0 :: v_dual_add_nc_u32 v10, v35, v2
	v_mov_b32_e32 v2, 0
	v_cmpx_lt_i32_e64 v10, v36
	s_cbranch_execz .LBB21_29
; %bb.2:
	v_add_co_u32 v1, vcc_lo, s22, v4
	v_add_co_ci_u32_e32 v2, vcc_lo, s23, v5, vcc_lo
	v_add_co_u32 v11, vcc_lo, s20, v4
	v_add_co_ci_u32_e32 v12, vcc_lo, s21, v5, vcc_lo
	s_mov_b32 s7, 0
	global_load_b32 v1, v[1:2], off
	global_load_b32 v2, v[11:12], off
	v_mov_b32_e32 v12, 0
	v_mov_b32_e32 v13, 0
	s_waitcnt vmcnt(1)
	v_subrev_nc_u32_e32 v37, s5, v1
	s_waitcnt vmcnt(0)
	v_subrev_nc_u32_e32 v38, s5, v2
	v_cmp_lt_i32_e64 s2, v2, v1
	v_dual_mov_b32 v1, v12 :: v_dual_mov_b32 v2, v13
	s_branch .LBB21_4
.LBB21_3:                               ;   in Loop: Header=BB21_4 Depth=1
	s_or_b32 exec_lo, exec_lo, s3
	v_add_f64 v[15:16], v[17:18], v[25:26]
	v_cmp_eq_u32_e32 vcc_lo, v3, v14
	s_delay_alu instid0(VALU_DEP_2) | instskip(NEXT) | instid1(VALU_DEP_1)
	v_dual_cndmask_b32 v11, v26, v16 :: v_dual_cndmask_b32 v14, v25, v15
	v_and_b32_e32 v15, 0x7fffffff, v11
	s_delay_alu instid0(VALU_DEP_1) | instskip(SKIP_1) | instid1(VALU_DEP_1)
	v_cmp_nlg_f64_e32 vcc_lo, 0x7ff00000, v[14:15]
	v_cmp_gt_f64_e64 s3, v[1:2], v[14:15]
	s_or_b32 vcc_lo, vcc_lo, s3
	v_dual_cndmask_b32 v1, v14, v1 :: v_dual_add_nc_u32 v10, 2, v10
	v_cndmask_b32_e32 v2, v15, v2, vcc_lo
	s_delay_alu instid0(VALU_DEP_2) | instskip(NEXT) | instid1(VALU_DEP_1)
	v_cmp_ge_i32_e64 s4, v10, v36
	s_or_b32 s7, s4, s7
	s_delay_alu instid0(SALU_CYCLE_1)
	s_and_not1_b32 exec_lo, exec_lo, s7
	s_cbranch_execz .LBB21_28
.LBB21_4:                               ; =>This Loop Header: Depth=1
                                        ;     Child Loop BB21_7 Depth 2
                                        ;     Child Loop BB21_13 Depth 2
	;; [unrolled: 1-line block ×3, first 2 shown]
	v_ashrrev_i32_e32 v11, 31, v10
	s_delay_alu instid0(VALU_DEP_1) | instskip(NEXT) | instid1(VALU_DEP_1)
	v_lshlrev_b64 v[14:15], 2, v[10:11]
	v_add_co_u32 v14, vcc_lo, s8, v14
	s_delay_alu instid0(VALU_DEP_2) | instskip(SKIP_3) | instid1(VALU_DEP_1)
	v_add_co_ci_u32_e32 v15, vcc_lo, s9, v15, vcc_lo
	global_load_b32 v39, v[14:15], off
	s_waitcnt vmcnt(0)
	v_subrev_nc_u32_e32 v14, s5, v39
	v_ashrrev_i32_e32 v15, 31, v14
	s_delay_alu instid0(VALU_DEP_1) | instskip(NEXT) | instid1(VALU_DEP_1)
	v_lshlrev_b64 v[17:18], 2, v[14:15]
	v_add_co_u32 v15, vcc_lo, s22, v17
	s_delay_alu instid0(VALU_DEP_2)
	v_add_co_ci_u32_e32 v16, vcc_lo, s23, v18, vcc_lo
	v_add_co_u32 v21, vcc_lo, s12, v17
	v_add_co_ci_u32_e32 v22, vcc_lo, s13, v18, vcc_lo
	global_load_b32 v19, v[15:16], off
	v_lshlrev_b64 v[15:16], 3, v[10:11]
	v_add_co_u32 v17, vcc_lo, s26, v17
	v_add_co_ci_u32_e32 v18, vcc_lo, s27, v18, vcc_lo
	global_load_b32 v21, v[21:22], off
	global_load_b32 v22, v[17:18], off
	v_add_co_u32 v23, vcc_lo, s10, v15
	v_add_co_ci_u32_e32 v24, vcc_lo, s11, v16, vcc_lo
	s_waitcnt vmcnt(2)
	v_subrev_nc_u32_e32 v19, s5, v19
	s_delay_alu instid0(VALU_DEP_1)
	v_ashrrev_i32_e32 v20, 31, v19
	s_waitcnt vmcnt(1)
	v_subrev_nc_u32_e32 v11, s5, v21
	s_waitcnt vmcnt(0)
	v_subrev_nc_u32_e32 v27, s5, v22
	v_lshlrev_b64 v[19:20], 3, v[19:20]
	s_delay_alu instid0(VALU_DEP_1) | instskip(NEXT) | instid1(VALU_DEP_2)
	v_add_co_u32 v17, vcc_lo, s18, v19
	v_add_co_ci_u32_e32 v18, vcc_lo, s19, v20, vcc_lo
	v_cmp_lt_i32_e32 vcc_lo, v22, v21
	global_load_b64 v[19:20], v[23:24], off
	global_load_b64 v[17:18], v[17:18], off
	v_dual_mov_b32 v23, v38 :: v_dual_mov_b32 v22, v13
	v_mov_b32_e32 v21, v12
	s_and_b32 s3, s2, vcc_lo
	s_delay_alu instid0(SALU_CYCLE_1)
	s_and_saveexec_b32 s4, s3
	s_cbranch_execz .LBB21_10
; %bb.5:                                ;   in Loop: Header=BB21_4 Depth=1
	v_mov_b32_e32 v21, 0
	v_dual_mov_b32 v22, 0 :: v_dual_mov_b32 v23, v38
	s_mov_b32 s30, 0
	s_branch .LBB21_7
.LBB21_6:                               ;   in Loop: Header=BB21_7 Depth=2
	s_or_b32 exec_lo, exec_lo, s3
	v_cmp_le_i32_e32 vcc_lo, v28, v29
	v_add_co_ci_u32_e32 v23, vcc_lo, 0, v23, vcc_lo
	v_cmp_ge_i32_e32 vcc_lo, v28, v29
	v_add_co_ci_u32_e32 v27, vcc_lo, 0, v27, vcc_lo
	s_delay_alu instid0(VALU_DEP_3) | instskip(NEXT) | instid1(VALU_DEP_2)
	v_cmp_ge_i32_e32 vcc_lo, v23, v37
	v_cmp_ge_i32_e64 s3, v27, v11
	s_delay_alu instid0(VALU_DEP_1) | instskip(NEXT) | instid1(SALU_CYCLE_1)
	s_or_b32 s3, vcc_lo, s3
	s_and_b32 s3, exec_lo, s3
	s_delay_alu instid0(SALU_CYCLE_1) | instskip(NEXT) | instid1(SALU_CYCLE_1)
	s_or_b32 s30, s3, s30
	s_and_not1_b32 exec_lo, exec_lo, s30
	s_cbranch_execz .LBB21_9
.LBB21_7:                               ;   Parent Loop BB21_4 Depth=1
                                        ; =>  This Inner Loop Header: Depth=2
	s_delay_alu instid0(VALU_DEP_1) | instskip(SKIP_2) | instid1(VALU_DEP_2)
	v_ashrrev_i32_e32 v24, 31, v23
	v_ashrrev_i32_e32 v28, 31, v27
	s_mov_b32 s3, exec_lo
	v_lshlrev_b64 v[29:30], 2, v[23:24]
	s_delay_alu instid0(VALU_DEP_2) | instskip(NEXT) | instid1(VALU_DEP_2)
	v_lshlrev_b64 v[25:26], 2, v[27:28]
	v_add_co_u32 v28, vcc_lo, s24, v29
	s_delay_alu instid0(VALU_DEP_3) | instskip(NEXT) | instid1(VALU_DEP_3)
	v_add_co_ci_u32_e32 v29, vcc_lo, s25, v30, vcc_lo
	v_add_co_u32 v30, vcc_lo, s14, v25
	s_delay_alu instid0(VALU_DEP_4)
	v_add_co_ci_u32_e32 v31, vcc_lo, s15, v26, vcc_lo
	global_load_b32 v28, v[28:29], off
	global_load_b32 v29, v[30:31], off
	s_waitcnt vmcnt(0)
	v_cmpx_eq_u32_e64 v28, v29
	s_cbranch_execz .LBB21_6
; %bb.8:                                ;   in Loop: Header=BB21_7 Depth=2
	v_add_co_u32 v25, vcc_lo, s16, v25
	v_add_co_ci_u32_e32 v26, vcc_lo, s17, v26, vcc_lo
	v_lshlrev_b64 v[30:31], 3, v[23:24]
	global_load_b32 v25, v[25:26], off
	v_add_co_u32 v30, vcc_lo, s18, v30
	v_add_co_ci_u32_e32 v31, vcc_lo, s19, v31, vcc_lo
	s_waitcnt vmcnt(0)
	v_ashrrev_i32_e32 v26, 31, v25
	s_delay_alu instid0(VALU_DEP_1) | instskip(NEXT) | instid1(VALU_DEP_1)
	v_lshlrev_b64 v[24:25], 3, v[25:26]
	v_add_co_u32 v24, vcc_lo, s18, v24
	s_delay_alu instid0(VALU_DEP_2)
	v_add_co_ci_u32_e32 v25, vcc_lo, s19, v25, vcc_lo
	s_clause 0x1
	global_load_b64 v[30:31], v[30:31], off
	global_load_b64 v[24:25], v[24:25], off
	s_waitcnt vmcnt(0)
	v_fma_f64 v[21:22], v[30:31], v[24:25], v[21:22]
	s_branch .LBB21_6
.LBB21_9:                               ;   in Loop: Header=BB21_4 Depth=1
	s_or_b32 exec_lo, exec_lo, s30
.LBB21_10:                              ;   in Loop: Header=BB21_4 Depth=1
	s_delay_alu instid0(SALU_CYCLE_1)
	s_or_b32 exec_lo, exec_lo, s4
	s_waitcnt vmcnt(1)
	v_add_f64 v[25:26], v[21:22], -v[19:20]
	s_mov_b32 s4, exec_lo
	v_cmpx_lt_i32_e64 v27, v11
	s_cbranch_execz .LBB21_18
; %bb.11:                               ;   in Loop: Header=BB21_4 Depth=1
	v_ashrrev_i32_e32 v28, 31, v27
	s_mov_b32 s30, 0
                                        ; implicit-def: $sgpr31
                                        ; implicit-def: $sgpr34
                                        ; implicit-def: $sgpr33
	s_delay_alu instid0(VALU_DEP_1) | instskip(NEXT) | instid1(VALU_DEP_1)
	v_lshlrev_b64 v[29:30], 2, v[27:28]
	v_add_co_u32 v29, vcc_lo, s14, v29
	s_delay_alu instid0(VALU_DEP_2)
	v_add_co_ci_u32_e32 v30, vcc_lo, s15, v30, vcc_lo
	s_set_inst_prefetch_distance 0x1
	s_branch .LBB21_13
	.p2align	6
.LBB21_12:                              ;   in Loop: Header=BB21_13 Depth=2
	s_or_b32 exec_lo, exec_lo, s35
	s_delay_alu instid0(SALU_CYCLE_1) | instskip(NEXT) | instid1(SALU_CYCLE_1)
	s_and_b32 s3, exec_lo, s34
	s_or_b32 s30, s3, s30
	s_and_not1_b32 s3, s31, exec_lo
	s_and_b32 s31, s33, exec_lo
	s_delay_alu instid0(SALU_CYCLE_1)
	s_or_b32 s31, s3, s31
	s_and_not1_b32 exec_lo, exec_lo, s30
	s_cbranch_execz .LBB21_15
.LBB21_13:                              ;   Parent Loop BB21_4 Depth=1
                                        ; =>  This Inner Loop Header: Depth=2
	global_load_b32 v24, v[29:30], off
	v_dual_mov_b32 v32, v28 :: v_dual_mov_b32 v31, v27
	s_or_b32 s33, s33, exec_lo
	s_or_b32 s34, s34, exec_lo
	s_mov_b32 s35, exec_lo
                                        ; implicit-def: $vgpr27_vgpr28
	s_waitcnt vmcnt(0)
	v_subrev_nc_u32_e32 v24, s5, v24
	s_delay_alu instid0(VALU_DEP_1)
	v_cmpx_ne_u32_e64 v24, v3
	s_cbranch_execz .LBB21_12
; %bb.14:                               ;   in Loop: Header=BB21_13 Depth=2
	v_add_co_u32 v27, vcc_lo, v31, 1
	v_add_co_ci_u32_e32 v28, vcc_lo, 0, v32, vcc_lo
	v_add_co_u32 v29, s3, v29, 4
	s_delay_alu instid0(VALU_DEP_3) | instskip(SKIP_4) | instid1(SALU_CYCLE_1)
	v_cmp_ge_i32_e32 vcc_lo, v27, v11
	v_add_co_ci_u32_e64 v30, s3, 0, v30, s3
	s_and_not1_b32 s3, s34, exec_lo
	s_and_not1_b32 s33, s33, exec_lo
	s_and_b32 s34, vcc_lo, exec_lo
	s_or_b32 s34, s3, s34
	s_branch .LBB21_12
.LBB21_15:                              ;   in Loop: Header=BB21_4 Depth=1
	s_set_inst_prefetch_distance 0x2
	s_or_b32 exec_lo, exec_lo, s30
	s_and_saveexec_b32 s3, s31
	s_delay_alu instid0(SALU_CYCLE_1)
	s_xor_b32 s3, exec_lo, s3
	s_cbranch_execz .LBB21_17
; %bb.16:                               ;   in Loop: Header=BB21_4 Depth=1
	v_lshlrev_b64 v[27:28], 2, v[31:32]
	s_delay_alu instid0(VALU_DEP_1) | instskip(NEXT) | instid1(VALU_DEP_2)
	v_add_co_u32 v27, vcc_lo, s16, v27
	v_add_co_ci_u32_e32 v28, vcc_lo, s17, v28, vcc_lo
	global_load_b32 v27, v[27:28], off
	s_waitcnt vmcnt(0)
	v_ashrrev_i32_e32 v28, 31, v27
	s_delay_alu instid0(VALU_DEP_1) | instskip(NEXT) | instid1(VALU_DEP_1)
	v_lshlrev_b64 v[27:28], 3, v[27:28]
	v_add_co_u32 v27, vcc_lo, s18, v27
	s_delay_alu instid0(VALU_DEP_2)
	v_add_co_ci_u32_e32 v28, vcc_lo, s19, v28, vcc_lo
	global_load_b64 v[27:28], v[27:28], off
	s_waitcnt vmcnt(0)
	v_add_f64 v[25:26], v[25:26], v[27:28]
.LBB21_17:                              ;   in Loop: Header=BB21_4 Depth=1
	s_or_b32 exec_lo, exec_lo, s3
.LBB21_18:                              ;   in Loop: Header=BB21_4 Depth=1
	s_delay_alu instid0(SALU_CYCLE_1) | instskip(NEXT) | instid1(SALU_CYCLE_1)
	s_or_b32 exec_lo, exec_lo, s4
	s_mov_b32 s4, exec_lo
	v_cmpx_lt_i32_e64 v23, v37
	s_cbranch_execz .LBB21_26
; %bb.19:                               ;   in Loop: Header=BB21_4 Depth=1
	v_ashrrev_i32_e32 v24, 31, v23
	s_mov_b32 s30, 0
                                        ; implicit-def: $sgpr31
                                        ; implicit-def: $sgpr34
                                        ; implicit-def: $sgpr33
	s_delay_alu instid0(VALU_DEP_1) | instskip(NEXT) | instid1(VALU_DEP_1)
	v_lshlrev_b64 v[27:28], 2, v[23:24]
	v_add_co_u32 v27, vcc_lo, s24, v27
	s_delay_alu instid0(VALU_DEP_2)
	v_add_co_ci_u32_e32 v28, vcc_lo, s25, v28, vcc_lo
	s_set_inst_prefetch_distance 0x1
	s_branch .LBB21_21
	.p2align	6
.LBB21_20:                              ;   in Loop: Header=BB21_21 Depth=2
	s_or_b32 exec_lo, exec_lo, s35
	s_delay_alu instid0(SALU_CYCLE_1) | instskip(NEXT) | instid1(SALU_CYCLE_1)
	s_and_b32 s3, exec_lo, s34
	s_or_b32 s30, s3, s30
	s_and_not1_b32 s3, s31, exec_lo
	s_and_b32 s31, s33, exec_lo
	s_delay_alu instid0(SALU_CYCLE_1)
	s_or_b32 s31, s3, s31
	s_and_not1_b32 exec_lo, exec_lo, s30
	s_cbranch_execz .LBB21_23
.LBB21_21:                              ;   Parent Loop BB21_4 Depth=1
                                        ; =>  This Inner Loop Header: Depth=2
	global_load_b32 v11, v[27:28], off
	v_dual_mov_b32 v30, v24 :: v_dual_mov_b32 v29, v23
	s_or_b32 s33, s33, exec_lo
	s_or_b32 s34, s34, exec_lo
	s_mov_b32 s35, exec_lo
                                        ; implicit-def: $vgpr23_vgpr24
	s_waitcnt vmcnt(0)
	v_cmpx_ne_u32_e64 v11, v39
	s_cbranch_execz .LBB21_20
; %bb.22:                               ;   in Loop: Header=BB21_21 Depth=2
	v_add_co_u32 v23, vcc_lo, v29, 1
	v_add_co_ci_u32_e32 v24, vcc_lo, 0, v30, vcc_lo
	v_add_co_u32 v27, s3, v27, 4
	s_delay_alu instid0(VALU_DEP_3) | instskip(SKIP_4) | instid1(SALU_CYCLE_1)
	v_cmp_ge_i32_e32 vcc_lo, v23, v37
	v_add_co_ci_u32_e64 v28, s3, 0, v28, s3
	s_and_not1_b32 s3, s34, exec_lo
	s_and_not1_b32 s33, s33, exec_lo
	s_and_b32 s34, vcc_lo, exec_lo
	s_or_b32 s34, s3, s34
	s_branch .LBB21_20
.LBB21_23:                              ;   in Loop: Header=BB21_4 Depth=1
	s_set_inst_prefetch_distance 0x2
	s_or_b32 exec_lo, exec_lo, s30
	s_and_saveexec_b32 s3, s31
	s_delay_alu instid0(SALU_CYCLE_1)
	s_xor_b32 s3, exec_lo, s3
	s_cbranch_execz .LBB21_25
; %bb.24:                               ;   in Loop: Header=BB21_4 Depth=1
	v_lshlrev_b64 v[23:24], 3, v[29:30]
	s_delay_alu instid0(VALU_DEP_1) | instskip(NEXT) | instid1(VALU_DEP_2)
	v_add_co_u32 v23, vcc_lo, s18, v23
	v_add_co_ci_u32_e32 v24, vcc_lo, s19, v24, vcc_lo
	global_load_b64 v[23:24], v[23:24], off
	s_waitcnt vmcnt(0)
	v_fma_f64 v[25:26], v[23:24], v[17:18], v[25:26]
.LBB21_25:                              ;   in Loop: Header=BB21_4 Depth=1
	s_or_b32 exec_lo, exec_lo, s3
.LBB21_26:                              ;   in Loop: Header=BB21_4 Depth=1
	s_delay_alu instid0(SALU_CYCLE_1) | instskip(SKIP_2) | instid1(VALU_DEP_1)
	s_or_b32 exec_lo, exec_lo, s4
	v_add_f64 v[19:20], v[19:20], -v[21:22]
	s_waitcnt vmcnt(0)
	v_div_scale_f64 v[21:22], null, v[17:18], v[17:18], v[19:20]
	v_div_scale_f64 v[29:30], vcc_lo, v[19:20], v[17:18], v[19:20]
	s_delay_alu instid0(VALU_DEP_2) | instskip(SKIP_2) | instid1(VALU_DEP_1)
	v_rcp_f64_e32 v[23:24], v[21:22]
	s_waitcnt_depctr 0xfff
	v_fma_f64 v[27:28], -v[21:22], v[23:24], 1.0
	v_fma_f64 v[23:24], v[23:24], v[27:28], v[23:24]
	s_delay_alu instid0(VALU_DEP_1) | instskip(NEXT) | instid1(VALU_DEP_1)
	v_fma_f64 v[27:28], -v[21:22], v[23:24], 1.0
	v_fma_f64 v[23:24], v[23:24], v[27:28], v[23:24]
	s_delay_alu instid0(VALU_DEP_1) | instskip(NEXT) | instid1(VALU_DEP_1)
	v_mul_f64 v[27:28], v[29:30], v[23:24]
	v_fma_f64 v[21:22], -v[21:22], v[27:28], v[29:30]
	s_delay_alu instid0(VALU_DEP_1) | instskip(SKIP_1) | instid1(VALU_DEP_2)
	v_div_fmas_f64 v[21:22], v[21:22], v[23:24], v[27:28]
	v_cmp_gt_i32_e32 vcc_lo, v3, v14
	v_div_fixup_f64 v[21:22], v[21:22], v[17:18], v[19:20]
	s_delay_alu instid0(VALU_DEP_1) | instskip(NEXT) | instid1(VALU_DEP_1)
	v_dual_cndmask_b32 v20, v20, v22 :: v_dual_cndmask_b32 v19, v19, v21
	v_cmp_class_f64_e64 s4, v[19:20], 0x1f8
	s_delay_alu instid0(VALU_DEP_1)
	s_and_saveexec_b32 s3, s4
	s_cbranch_execz .LBB21_3
; %bb.27:                               ;   in Loop: Header=BB21_4 Depth=1
	v_add_co_u32 v15, vcc_lo, s18, v15
	v_add_co_ci_u32_e32 v16, vcc_lo, s19, v16, vcc_lo
	global_store_b64 v[15:16], v[19:20], off
	s_branch .LBB21_3
.LBB21_28:
	s_or_b32 exec_lo, exec_lo, s7
.LBB21_29:
	s_delay_alu instid0(SALU_CYCLE_1) | instskip(SKIP_2) | instid1(VALU_DEP_1)
	s_or_b32 exec_lo, exec_lo, s6
	v_or_b32_e32 v24, 0x200, v3
	s_mov_b32 s6, exec_lo
	v_cmpx_gt_i32_e64 s29, v24
	s_cbranch_execz .LBB21_59
; %bb.30:
	global_load_b32 v3, v[6:7], off offset:2048
	global_load_b32 v6, v[8:9], off offset:2048
	s_mov_b32 s7, exec_lo
	s_waitcnt vmcnt(1)
	v_subrev_nc_u32_e32 v25, s5, v3
	s_waitcnt vmcnt(0)
	v_add_nc_u32_e32 v3, v35, v6
	s_delay_alu instid0(VALU_DEP_1)
	v_cmpx_lt_i32_e64 v3, v25
	s_cbranch_execz .LBB21_58
; %bb.31:
	v_add_co_u32 v6, vcc_lo, s22, v4
	v_add_co_ci_u32_e32 v7, vcc_lo, s23, v5, vcc_lo
	v_add_co_u32 v4, vcc_lo, s20, v4
	v_add_co_ci_u32_e32 v5, vcc_lo, s21, v5, vcc_lo
	s_mov_b32 s20, 0
	global_load_b32 v6, v[6:7], off offset:2048
	global_load_b32 v4, v[4:5], off offset:2048
	s_waitcnt vmcnt(1)
	v_subrev_nc_u32_e32 v26, s5, v6
	s_waitcnt vmcnt(0)
	v_subrev_nc_u32_e32 v27, s5, v4
	v_cmp_lt_i32_e64 s2, v4, v6
	s_branch .LBB21_33
.LBB21_32:                              ;   in Loop: Header=BB21_33 Depth=1
	s_or_b32 exec_lo, exec_lo, s3
	v_add_f64 v[6:7], v[8:9], v[16:17]
	v_cmp_eq_u32_e32 vcc_lo, v24, v5
	s_delay_alu instid0(VALU_DEP_2) | instskip(NEXT) | instid1(VALU_DEP_1)
	v_dual_cndmask_b32 v5, v17, v7 :: v_dual_cndmask_b32 v4, v16, v6
	v_and_b32_e32 v5, 0x7fffffff, v5
	s_delay_alu instid0(VALU_DEP_1) | instskip(SKIP_1) | instid1(VALU_DEP_1)
	v_cmp_nlg_f64_e32 vcc_lo, 0x7ff00000, v[4:5]
	v_cmp_gt_f64_e64 s3, v[1:2], v[4:5]
	s_or_b32 vcc_lo, vcc_lo, s3
	v_dual_cndmask_b32 v2, v5, v2 :: v_dual_add_nc_u32 v3, 2, v3
	v_cndmask_b32_e32 v1, v4, v1, vcc_lo
	s_delay_alu instid0(VALU_DEP_2) | instskip(NEXT) | instid1(VALU_DEP_1)
	v_cmp_ge_i32_e64 s4, v3, v25
	s_or_b32 s20, s4, s20
	s_delay_alu instid0(SALU_CYCLE_1)
	s_and_not1_b32 exec_lo, exec_lo, s20
	s_cbranch_execz .LBB21_57
.LBB21_33:                              ; =>This Loop Header: Depth=1
                                        ;     Child Loop BB21_36 Depth 2
                                        ;     Child Loop BB21_42 Depth 2
	;; [unrolled: 1-line block ×3, first 2 shown]
	v_ashrrev_i32_e32 v4, 31, v3
	s_delay_alu instid0(VALU_DEP_1) | instskip(NEXT) | instid1(VALU_DEP_1)
	v_lshlrev_b64 v[5:6], 2, v[3:4]
	v_add_co_u32 v5, vcc_lo, s8, v5
	s_delay_alu instid0(VALU_DEP_2) | instskip(SKIP_3) | instid1(VALU_DEP_1)
	v_add_co_ci_u32_e32 v6, vcc_lo, s9, v6, vcc_lo
	global_load_b32 v28, v[5:6], off
	s_waitcnt vmcnt(0)
	v_subrev_nc_u32_e32 v5, s5, v28
	v_ashrrev_i32_e32 v6, 31, v5
	s_delay_alu instid0(VALU_DEP_1) | instskip(NEXT) | instid1(VALU_DEP_1)
	v_lshlrev_b64 v[8:9], 2, v[5:6]
	v_add_co_u32 v6, vcc_lo, s22, v8
	s_delay_alu instid0(VALU_DEP_2)
	v_add_co_ci_u32_e32 v7, vcc_lo, s23, v9, vcc_lo
	v_add_co_u32 v12, vcc_lo, s12, v8
	v_add_co_ci_u32_e32 v13, vcc_lo, s13, v9, vcc_lo
	global_load_b32 v10, v[6:7], off
	v_lshlrev_b64 v[6:7], 3, v[3:4]
	v_add_co_u32 v8, vcc_lo, s26, v8
	v_add_co_ci_u32_e32 v9, vcc_lo, s27, v9, vcc_lo
	global_load_b32 v12, v[12:13], off
	global_load_b32 v13, v[8:9], off
	v_add_co_u32 v14, vcc_lo, s10, v6
	v_add_co_ci_u32_e32 v15, vcc_lo, s11, v7, vcc_lo
	s_waitcnt vmcnt(2)
	v_subrev_nc_u32_e32 v10, s5, v10
	s_delay_alu instid0(VALU_DEP_1)
	v_ashrrev_i32_e32 v11, 31, v10
	s_waitcnt vmcnt(1)
	v_subrev_nc_u32_e32 v4, s5, v12
	s_waitcnt vmcnt(0)
	v_subrev_nc_u32_e32 v18, s5, v13
	v_lshlrev_b64 v[10:11], 3, v[10:11]
	s_delay_alu instid0(VALU_DEP_1) | instskip(NEXT) | instid1(VALU_DEP_2)
	v_add_co_u32 v8, vcc_lo, s18, v10
	v_add_co_ci_u32_e32 v9, vcc_lo, s19, v11, vcc_lo
	v_cmp_lt_i32_e32 vcc_lo, v13, v12
	global_load_b64 v[10:11], v[14:15], off
	global_load_b64 v[8:9], v[8:9], off
	v_mov_b32_e32 v12, 0
	v_dual_mov_b32 v13, 0 :: v_dual_mov_b32 v14, v27
	s_and_b32 s3, s2, vcc_lo
	s_delay_alu instid0(SALU_CYCLE_1)
	s_and_saveexec_b32 s4, s3
	s_cbranch_execz .LBB21_39
; %bb.34:                               ;   in Loop: Header=BB21_33 Depth=1
	v_mov_b32_e32 v12, 0
	v_dual_mov_b32 v13, 0 :: v_dual_mov_b32 v14, v27
	s_mov_b32 s21, 0
	s_branch .LBB21_36
.LBB21_35:                              ;   in Loop: Header=BB21_36 Depth=2
	s_or_b32 exec_lo, exec_lo, s3
	v_cmp_le_i32_e32 vcc_lo, v19, v20
	v_add_co_ci_u32_e32 v14, vcc_lo, 0, v14, vcc_lo
	v_cmp_ge_i32_e32 vcc_lo, v19, v20
	v_add_co_ci_u32_e32 v18, vcc_lo, 0, v18, vcc_lo
	s_delay_alu instid0(VALU_DEP_3) | instskip(NEXT) | instid1(VALU_DEP_2)
	v_cmp_ge_i32_e32 vcc_lo, v14, v26
	v_cmp_ge_i32_e64 s3, v18, v4
	s_delay_alu instid0(VALU_DEP_1) | instskip(NEXT) | instid1(SALU_CYCLE_1)
	s_or_b32 s3, vcc_lo, s3
	s_and_b32 s3, exec_lo, s3
	s_delay_alu instid0(SALU_CYCLE_1) | instskip(NEXT) | instid1(SALU_CYCLE_1)
	s_or_b32 s21, s3, s21
	s_and_not1_b32 exec_lo, exec_lo, s21
	s_cbranch_execz .LBB21_38
.LBB21_36:                              ;   Parent Loop BB21_33 Depth=1
                                        ; =>  This Inner Loop Header: Depth=2
	s_delay_alu instid0(VALU_DEP_1) | instskip(SKIP_2) | instid1(VALU_DEP_2)
	v_ashrrev_i32_e32 v15, 31, v14
	v_ashrrev_i32_e32 v19, 31, v18
	s_mov_b32 s3, exec_lo
	v_lshlrev_b64 v[20:21], 2, v[14:15]
	s_delay_alu instid0(VALU_DEP_2) | instskip(NEXT) | instid1(VALU_DEP_2)
	v_lshlrev_b64 v[16:17], 2, v[18:19]
	v_add_co_u32 v19, vcc_lo, s24, v20
	s_delay_alu instid0(VALU_DEP_3) | instskip(NEXT) | instid1(VALU_DEP_3)
	v_add_co_ci_u32_e32 v20, vcc_lo, s25, v21, vcc_lo
	v_add_co_u32 v21, vcc_lo, s14, v16
	s_delay_alu instid0(VALU_DEP_4)
	v_add_co_ci_u32_e32 v22, vcc_lo, s15, v17, vcc_lo
	global_load_b32 v19, v[19:20], off
	global_load_b32 v20, v[21:22], off
	s_waitcnt vmcnt(0)
	v_cmpx_eq_u32_e64 v19, v20
	s_cbranch_execz .LBB21_35
; %bb.37:                               ;   in Loop: Header=BB21_36 Depth=2
	v_add_co_u32 v16, vcc_lo, s16, v16
	v_add_co_ci_u32_e32 v17, vcc_lo, s17, v17, vcc_lo
	v_lshlrev_b64 v[21:22], 3, v[14:15]
	global_load_b32 v16, v[16:17], off
	v_add_co_u32 v21, vcc_lo, s18, v21
	v_add_co_ci_u32_e32 v22, vcc_lo, s19, v22, vcc_lo
	s_waitcnt vmcnt(0)
	v_ashrrev_i32_e32 v17, 31, v16
	s_delay_alu instid0(VALU_DEP_1) | instskip(NEXT) | instid1(VALU_DEP_1)
	v_lshlrev_b64 v[15:16], 3, v[16:17]
	v_add_co_u32 v15, vcc_lo, s18, v15
	s_delay_alu instid0(VALU_DEP_2)
	v_add_co_ci_u32_e32 v16, vcc_lo, s19, v16, vcc_lo
	s_clause 0x1
	global_load_b64 v[21:22], v[21:22], off
	global_load_b64 v[15:16], v[15:16], off
	s_waitcnt vmcnt(0)
	v_fma_f64 v[12:13], v[21:22], v[15:16], v[12:13]
	s_branch .LBB21_35
.LBB21_38:                              ;   in Loop: Header=BB21_33 Depth=1
	s_or_b32 exec_lo, exec_lo, s21
.LBB21_39:                              ;   in Loop: Header=BB21_33 Depth=1
	s_delay_alu instid0(SALU_CYCLE_1)
	s_or_b32 exec_lo, exec_lo, s4
	s_waitcnt vmcnt(1)
	v_add_f64 v[16:17], v[12:13], -v[10:11]
	s_mov_b32 s4, exec_lo
	v_cmpx_lt_i32_e64 v18, v4
	s_cbranch_execz .LBB21_47
; %bb.40:                               ;   in Loop: Header=BB21_33 Depth=1
	v_ashrrev_i32_e32 v19, 31, v18
	s_mov_b32 s29, 0
                                        ; implicit-def: $sgpr21
                                        ; implicit-def: $sgpr31
                                        ; implicit-def: $sgpr30
	s_delay_alu instid0(VALU_DEP_1) | instskip(NEXT) | instid1(VALU_DEP_1)
	v_lshlrev_b64 v[20:21], 2, v[18:19]
	v_add_co_u32 v20, vcc_lo, s14, v20
	s_delay_alu instid0(VALU_DEP_2)
	v_add_co_ci_u32_e32 v21, vcc_lo, s15, v21, vcc_lo
	s_set_inst_prefetch_distance 0x1
	s_branch .LBB21_42
	.p2align	6
.LBB21_41:                              ;   in Loop: Header=BB21_42 Depth=2
	s_or_b32 exec_lo, exec_lo, s33
	s_delay_alu instid0(SALU_CYCLE_1) | instskip(NEXT) | instid1(SALU_CYCLE_1)
	s_and_b32 s3, exec_lo, s31
	s_or_b32 s29, s3, s29
	s_and_not1_b32 s3, s21, exec_lo
	s_and_b32 s21, s30, exec_lo
	s_delay_alu instid0(SALU_CYCLE_1)
	s_or_b32 s21, s3, s21
	s_and_not1_b32 exec_lo, exec_lo, s29
	s_cbranch_execz .LBB21_44
.LBB21_42:                              ;   Parent Loop BB21_33 Depth=1
                                        ; =>  This Inner Loop Header: Depth=2
	global_load_b32 v15, v[20:21], off
	v_dual_mov_b32 v23, v19 :: v_dual_mov_b32 v22, v18
	s_or_b32 s30, s30, exec_lo
	s_or_b32 s31, s31, exec_lo
	s_mov_b32 s33, exec_lo
                                        ; implicit-def: $vgpr18_vgpr19
	s_waitcnt vmcnt(0)
	v_subrev_nc_u32_e32 v15, s5, v15
	s_delay_alu instid0(VALU_DEP_1)
	v_cmpx_ne_u32_e64 v15, v24
	s_cbranch_execz .LBB21_41
; %bb.43:                               ;   in Loop: Header=BB21_42 Depth=2
	v_add_co_u32 v18, vcc_lo, v22, 1
	v_add_co_ci_u32_e32 v19, vcc_lo, 0, v23, vcc_lo
	v_add_co_u32 v20, s3, v20, 4
	s_delay_alu instid0(VALU_DEP_3) | instskip(SKIP_4) | instid1(SALU_CYCLE_1)
	v_cmp_ge_i32_e32 vcc_lo, v18, v4
	v_add_co_ci_u32_e64 v21, s3, 0, v21, s3
	s_and_not1_b32 s3, s31, exec_lo
	s_and_not1_b32 s30, s30, exec_lo
	s_and_b32 s31, vcc_lo, exec_lo
	s_or_b32 s31, s3, s31
	s_branch .LBB21_41
.LBB21_44:                              ;   in Loop: Header=BB21_33 Depth=1
	s_set_inst_prefetch_distance 0x2
	s_or_b32 exec_lo, exec_lo, s29
	s_and_saveexec_b32 s3, s21
	s_delay_alu instid0(SALU_CYCLE_1)
	s_xor_b32 s3, exec_lo, s3
	s_cbranch_execz .LBB21_46
; %bb.45:                               ;   in Loop: Header=BB21_33 Depth=1
	v_lshlrev_b64 v[18:19], 2, v[22:23]
	s_delay_alu instid0(VALU_DEP_1) | instskip(NEXT) | instid1(VALU_DEP_2)
	v_add_co_u32 v18, vcc_lo, s16, v18
	v_add_co_ci_u32_e32 v19, vcc_lo, s17, v19, vcc_lo
	global_load_b32 v18, v[18:19], off
	s_waitcnt vmcnt(0)
	v_ashrrev_i32_e32 v19, 31, v18
	s_delay_alu instid0(VALU_DEP_1) | instskip(NEXT) | instid1(VALU_DEP_1)
	v_lshlrev_b64 v[18:19], 3, v[18:19]
	v_add_co_u32 v18, vcc_lo, s18, v18
	s_delay_alu instid0(VALU_DEP_2)
	v_add_co_ci_u32_e32 v19, vcc_lo, s19, v19, vcc_lo
	global_load_b64 v[18:19], v[18:19], off
	s_waitcnt vmcnt(0)
	v_add_f64 v[16:17], v[16:17], v[18:19]
.LBB21_46:                              ;   in Loop: Header=BB21_33 Depth=1
	s_or_b32 exec_lo, exec_lo, s3
.LBB21_47:                              ;   in Loop: Header=BB21_33 Depth=1
	s_delay_alu instid0(SALU_CYCLE_1) | instskip(NEXT) | instid1(SALU_CYCLE_1)
	s_or_b32 exec_lo, exec_lo, s4
	s_mov_b32 s4, exec_lo
	v_cmpx_lt_i32_e64 v14, v26
	s_cbranch_execz .LBB21_55
; %bb.48:                               ;   in Loop: Header=BB21_33 Depth=1
	v_ashrrev_i32_e32 v15, 31, v14
	s_mov_b32 s29, 0
                                        ; implicit-def: $sgpr21
                                        ; implicit-def: $sgpr31
                                        ; implicit-def: $sgpr30
	s_delay_alu instid0(VALU_DEP_1) | instskip(NEXT) | instid1(VALU_DEP_1)
	v_lshlrev_b64 v[18:19], 2, v[14:15]
	v_add_co_u32 v18, vcc_lo, s24, v18
	s_delay_alu instid0(VALU_DEP_2)
	v_add_co_ci_u32_e32 v19, vcc_lo, s25, v19, vcc_lo
	s_set_inst_prefetch_distance 0x1
	s_branch .LBB21_50
	.p2align	6
.LBB21_49:                              ;   in Loop: Header=BB21_50 Depth=2
	s_or_b32 exec_lo, exec_lo, s33
	s_delay_alu instid0(SALU_CYCLE_1) | instskip(NEXT) | instid1(SALU_CYCLE_1)
	s_and_b32 s3, exec_lo, s31
	s_or_b32 s29, s3, s29
	s_and_not1_b32 s3, s21, exec_lo
	s_and_b32 s21, s30, exec_lo
	s_delay_alu instid0(SALU_CYCLE_1)
	s_or_b32 s21, s3, s21
	s_and_not1_b32 exec_lo, exec_lo, s29
	s_cbranch_execz .LBB21_52
.LBB21_50:                              ;   Parent Loop BB21_33 Depth=1
                                        ; =>  This Inner Loop Header: Depth=2
	global_load_b32 v4, v[18:19], off
	v_dual_mov_b32 v21, v15 :: v_dual_mov_b32 v20, v14
	s_or_b32 s30, s30, exec_lo
	s_or_b32 s31, s31, exec_lo
	s_mov_b32 s33, exec_lo
                                        ; implicit-def: $vgpr14_vgpr15
	s_waitcnt vmcnt(0)
	v_cmpx_ne_u32_e64 v4, v28
	s_cbranch_execz .LBB21_49
; %bb.51:                               ;   in Loop: Header=BB21_50 Depth=2
	v_add_co_u32 v14, vcc_lo, v20, 1
	v_add_co_ci_u32_e32 v15, vcc_lo, 0, v21, vcc_lo
	v_add_co_u32 v18, s3, v18, 4
	s_delay_alu instid0(VALU_DEP_3) | instskip(SKIP_4) | instid1(SALU_CYCLE_1)
	v_cmp_ge_i32_e32 vcc_lo, v14, v26
	v_add_co_ci_u32_e64 v19, s3, 0, v19, s3
	s_and_not1_b32 s3, s31, exec_lo
	s_and_not1_b32 s30, s30, exec_lo
	s_and_b32 s31, vcc_lo, exec_lo
	s_or_b32 s31, s3, s31
	s_branch .LBB21_49
.LBB21_52:                              ;   in Loop: Header=BB21_33 Depth=1
	s_set_inst_prefetch_distance 0x2
	s_or_b32 exec_lo, exec_lo, s29
	s_and_saveexec_b32 s3, s21
	s_delay_alu instid0(SALU_CYCLE_1)
	s_xor_b32 s3, exec_lo, s3
	s_cbranch_execz .LBB21_54
; %bb.53:                               ;   in Loop: Header=BB21_33 Depth=1
	v_lshlrev_b64 v[14:15], 3, v[20:21]
	s_delay_alu instid0(VALU_DEP_1) | instskip(NEXT) | instid1(VALU_DEP_2)
	v_add_co_u32 v14, vcc_lo, s18, v14
	v_add_co_ci_u32_e32 v15, vcc_lo, s19, v15, vcc_lo
	global_load_b64 v[14:15], v[14:15], off
	s_waitcnt vmcnt(0)
	v_fma_f64 v[16:17], v[14:15], v[8:9], v[16:17]
.LBB21_54:                              ;   in Loop: Header=BB21_33 Depth=1
	s_or_b32 exec_lo, exec_lo, s3
.LBB21_55:                              ;   in Loop: Header=BB21_33 Depth=1
	s_delay_alu instid0(SALU_CYCLE_1) | instskip(SKIP_2) | instid1(VALU_DEP_1)
	s_or_b32 exec_lo, exec_lo, s4
	v_add_f64 v[10:11], v[10:11], -v[12:13]
	s_waitcnt vmcnt(0)
	v_div_scale_f64 v[12:13], null, v[8:9], v[8:9], v[10:11]
	v_div_scale_f64 v[20:21], vcc_lo, v[10:11], v[8:9], v[10:11]
	s_delay_alu instid0(VALU_DEP_2) | instskip(SKIP_2) | instid1(VALU_DEP_1)
	v_rcp_f64_e32 v[14:15], v[12:13]
	s_waitcnt_depctr 0xfff
	v_fma_f64 v[18:19], -v[12:13], v[14:15], 1.0
	v_fma_f64 v[14:15], v[14:15], v[18:19], v[14:15]
	s_delay_alu instid0(VALU_DEP_1) | instskip(NEXT) | instid1(VALU_DEP_1)
	v_fma_f64 v[18:19], -v[12:13], v[14:15], 1.0
	v_fma_f64 v[14:15], v[14:15], v[18:19], v[14:15]
	s_delay_alu instid0(VALU_DEP_1) | instskip(NEXT) | instid1(VALU_DEP_1)
	v_mul_f64 v[18:19], v[20:21], v[14:15]
	v_fma_f64 v[12:13], -v[12:13], v[18:19], v[20:21]
	s_delay_alu instid0(VALU_DEP_1) | instskip(SKIP_1) | instid1(VALU_DEP_2)
	v_div_fmas_f64 v[12:13], v[12:13], v[14:15], v[18:19]
	v_cmp_gt_i32_e32 vcc_lo, v24, v5
	v_div_fixup_f64 v[12:13], v[12:13], v[8:9], v[10:11]
	s_delay_alu instid0(VALU_DEP_1) | instskip(NEXT) | instid1(VALU_DEP_1)
	v_dual_cndmask_b32 v11, v11, v13 :: v_dual_cndmask_b32 v10, v10, v12
	v_cmp_class_f64_e64 s4, v[10:11], 0x1f8
	s_delay_alu instid0(VALU_DEP_1)
	s_and_saveexec_b32 s3, s4
	s_cbranch_execz .LBB21_32
; %bb.56:                               ;   in Loop: Header=BB21_33 Depth=1
	v_add_co_u32 v6, vcc_lo, s18, v6
	v_add_co_ci_u32_e32 v7, vcc_lo, s19, v7, vcc_lo
	global_store_b64 v[6:7], v[10:11], off
	s_branch .LBB21_32
.LBB21_57:
	s_or_b32 exec_lo, exec_lo, s20
.LBB21_58:
	s_delay_alu instid0(SALU_CYCLE_1)
	s_or_b32 exec_lo, exec_lo, s7
.LBB21_59:
	s_delay_alu instid0(SALU_CYCLE_1)
	s_or_b32 exec_lo, exec_lo, s6
.LBB21_60:
	s_delay_alu instid0(SALU_CYCLE_1) | instskip(SKIP_2) | instid1(VALU_DEP_1)
	s_or_b32 exec_lo, exec_lo, s28
	v_mbcnt_lo_u32_b32 v3, -1, 0
	s_mov_b32 s2, exec_lo
	v_xor_b32_e32 v4, 1, v3
	s_delay_alu instid0(VALU_DEP_1) | instskip(SKIP_1) | instid1(VALU_DEP_1)
	v_cmp_gt_i32_e32 vcc_lo, 32, v4
	v_cndmask_b32_e32 v3, v3, v4, vcc_lo
	v_lshlrev_b32_e32 v4, 2, v3
	ds_bpermute_b32 v3, v4, v1
	ds_bpermute_b32 v4, v4, v2
	v_cmpx_ne_u32_e32 0, v34
	s_cbranch_execz .LBB21_62
; %bb.61:
	s_waitcnt lgkmcnt(0)
	v_cmp_lt_f64_e32 vcc_lo, v[1:2], v[3:4]
	v_dual_cndmask_b32 v2, v2, v4 :: v_dual_lshlrev_b32 v5, 3, v33
	v_cndmask_b32_e32 v1, v1, v3, vcc_lo
	ds_store_b64 v5, v[1:2]
.LBB21_62:
	s_or_b32 exec_lo, exec_lo, s2
	v_lshlrev_b32_e32 v1, 3, v0
	s_mov_b32 s2, exec_lo
	s_waitcnt lgkmcnt(0)
	s_waitcnt_vscnt null, 0x0
	s_barrier
	buffer_gl0_inv
	v_cmpx_gt_u32_e32 0x100, v0
	s_cbranch_execz .LBB21_64
; %bb.63:
	ds_load_2addr_stride64_b64 v[2:5], v1 offset1:4
	s_waitcnt lgkmcnt(0)
	v_cmp_lt_f64_e32 vcc_lo, v[2:3], v[4:5]
	v_dual_cndmask_b32 v3, v3, v5 :: v_dual_cndmask_b32 v2, v2, v4
	ds_store_b64 v1, v[2:3]
.LBB21_64:
	s_or_b32 exec_lo, exec_lo, s2
	s_delay_alu instid0(SALU_CYCLE_1)
	s_mov_b32 s2, exec_lo
	s_waitcnt lgkmcnt(0)
	s_barrier
	buffer_gl0_inv
	v_cmpx_gt_u32_e32 0x80, v0
	s_cbranch_execz .LBB21_66
; %bb.65:
	ds_load_2addr_stride64_b64 v[2:5], v1 offset1:2
	s_waitcnt lgkmcnt(0)
	v_cmp_lt_f64_e32 vcc_lo, v[2:3], v[4:5]
	v_dual_cndmask_b32 v3, v3, v5 :: v_dual_cndmask_b32 v2, v2, v4
	ds_store_b64 v1, v[2:3]
.LBB21_66:
	s_or_b32 exec_lo, exec_lo, s2
	s_delay_alu instid0(SALU_CYCLE_1)
	s_mov_b32 s2, exec_lo
	s_waitcnt lgkmcnt(0)
	;; [unrolled: 15-line block ×3, first 2 shown]
	s_barrier
	buffer_gl0_inv
	v_cmpx_gt_u32_e32 32, v0
	s_cbranch_execz .LBB21_70
; %bb.69:
	ds_load_2addr_b64 v[2:5], v1 offset1:32
	s_waitcnt lgkmcnt(0)
	v_cmp_lt_f64_e32 vcc_lo, v[2:3], v[4:5]
	v_dual_cndmask_b32 v3, v3, v5 :: v_dual_cndmask_b32 v2, v2, v4
	ds_store_b64 v1, v[2:3]
.LBB21_70:
	s_or_b32 exec_lo, exec_lo, s2
	s_delay_alu instid0(SALU_CYCLE_1)
	s_mov_b32 s2, exec_lo
	s_waitcnt lgkmcnt(0)
	s_barrier
	buffer_gl0_inv
	v_cmpx_gt_u32_e32 16, v0
	s_cbranch_execz .LBB21_72
; %bb.71:
	ds_load_2addr_b64 v[2:5], v1 offset1:16
	s_waitcnt lgkmcnt(0)
	v_cmp_lt_f64_e32 vcc_lo, v[2:3], v[4:5]
	v_dual_cndmask_b32 v3, v3, v5 :: v_dual_cndmask_b32 v2, v2, v4
	ds_store_b64 v1, v[2:3]
.LBB21_72:
	s_or_b32 exec_lo, exec_lo, s2
	s_delay_alu instid0(SALU_CYCLE_1)
	s_mov_b32 s2, exec_lo
	s_waitcnt lgkmcnt(0)
	;; [unrolled: 15-line block ×4, first 2 shown]
	s_barrier
	buffer_gl0_inv
	v_cmpx_gt_u32_e32 2, v0
	s_cbranch_execz .LBB21_78
; %bb.77:
	ds_load_2addr_b64 v[2:5], v1 offset1:2
	s_waitcnt lgkmcnt(0)
	v_cmp_lt_f64_e32 vcc_lo, v[2:3], v[4:5]
	v_dual_cndmask_b32 v3, v3, v5 :: v_dual_cndmask_b32 v2, v2, v4
	ds_store_b64 v1, v[2:3]
.LBB21_78:
	s_or_b32 exec_lo, exec_lo, s2
	v_cmp_eq_u32_e32 vcc_lo, 0, v0
	s_waitcnt lgkmcnt(0)
	s_barrier
	buffer_gl0_inv
	s_and_saveexec_b32 s3, vcc_lo
	s_cbranch_execz .LBB21_80
; %bb.79:
	v_mov_b32_e32 v4, 0
	ds_load_b128 v[0:3], v4
	s_waitcnt lgkmcnt(0)
	v_cmp_lt_f64_e64 s2, v[0:1], v[2:3]
	s_delay_alu instid0(VALU_DEP_1)
	v_cndmask_b32_e64 v1, v1, v3, s2
	v_cndmask_b32_e64 v0, v0, v2, s2
	ds_store_b64 v4, v[0:1]
.LBB21_80:
	s_or_b32 exec_lo, exec_lo, s3
	s_waitcnt lgkmcnt(0)
	s_barrier
	buffer_gl0_inv
	s_and_saveexec_b32 s2, vcc_lo
	s_cbranch_execz .LBB21_85
; %bb.81:
	s_load_b128 s[4:7], s[0:1], 0x70
	v_mov_b32_e32 v4, 0
	s_brev_b32 s3, 1
	s_mov_b32 s2, 0
	ds_load_b64 v[0:1], v4
	s_waitcnt lgkmcnt(0)
	s_load_b64 s[0:1], s[6:7], 0x0
	global_load_b64 v[2:3], v4, s[4:5] glc
	s_waitcnt lgkmcnt(0)
	v_div_scale_f64 v[5:6], null, s[0:1], s[0:1], v[0:1]
	s_delay_alu instid0(VALU_DEP_1) | instskip(SKIP_2) | instid1(VALU_DEP_1)
	v_rcp_f64_e32 v[7:8], v[5:6]
	s_waitcnt_depctr 0xfff
	v_fma_f64 v[9:10], -v[5:6], v[7:8], 1.0
	v_fma_f64 v[7:8], v[7:8], v[9:10], v[7:8]
	s_delay_alu instid0(VALU_DEP_1) | instskip(NEXT) | instid1(VALU_DEP_1)
	v_fma_f64 v[9:10], -v[5:6], v[7:8], 1.0
	v_fma_f64 v[7:8], v[7:8], v[9:10], v[7:8]
	v_div_scale_f64 v[9:10], vcc_lo, v[0:1], s[0:1], v[0:1]
	s_delay_alu instid0(VALU_DEP_1) | instskip(NEXT) | instid1(VALU_DEP_1)
	v_mul_f64 v[11:12], v[9:10], v[7:8]
	v_fma_f64 v[5:6], -v[5:6], v[11:12], v[9:10]
	s_waitcnt vmcnt(0)
	v_cmp_eq_u64_e64 s6, s[2:3], v[2:3]
                                        ; implicit-def: $sgpr3
	s_delay_alu instid0(VALU_DEP_2) | instskip(NEXT) | instid1(VALU_DEP_1)
	v_div_fmas_f64 v[5:6], v[5:6], v[7:8], v[11:12]
	v_div_fixup_f64 v[0:1], v[5:6], s[0:1], v[0:1]
                                        ; implicit-def: $sgpr1
	s_delay_alu instid0(VALU_DEP_1)
	v_cmp_eq_f64_e32 vcc_lo, 0, v[0:1]
	s_set_inst_prefetch_distance 0x1
	s_branch .LBB21_83
	.p2align	6
.LBB21_82:                              ;   in Loop: Header=BB21_83 Depth=1
	s_or_b32 exec_lo, exec_lo, s7
	s_delay_alu instid0(SALU_CYCLE_1) | instskip(NEXT) | instid1(SALU_CYCLE_1)
	s_and_b32 s0, exec_lo, s1
	s_or_b32 s2, s0, s2
	s_and_not1_b32 s0, s6, exec_lo
	s_and_b32 s6, s3, exec_lo
	s_delay_alu instid0(SALU_CYCLE_1)
	s_or_b32 s6, s0, s6
	s_and_not1_b32 exec_lo, exec_lo, s2
	s_cbranch_execz .LBB21_85
.LBB21_83:                              ; =>This Inner Loop Header: Depth=1
	v_cmp_lt_f64_e64 s0, v[2:3], v[0:1]
	s_and_b32 s7, vcc_lo, s6
	s_and_not1_b32 s3, s3, exec_lo
	s_or_b32 s1, s1, exec_lo
	s_delay_alu instid0(VALU_DEP_1) | instskip(NEXT) | instid1(SALU_CYCLE_1)
	s_or_b32 s0, s0, s7
	s_and_saveexec_b32 s7, s0
	s_cbranch_execz .LBB21_82
; %bb.84:                               ;   in Loop: Header=BB21_83 Depth=1
	global_atomic_cmpswap_b64 v[5:6], v4, v[0:3], s[4:5] glc
	s_and_not1_b32 s3, s3, exec_lo
	s_and_not1_b32 s1, s1, exec_lo
	s_waitcnt vmcnt(0)
	v_cmp_eq_u64_e64 s0, v[5:6], v[2:3]
	s_delay_alu instid0(VALU_DEP_1) | instskip(SKIP_2) | instid1(SALU_CYCLE_1)
	v_cndmask_b32_e64 v3, v6, v3, s0
	v_cndmask_b32_e64 v2, v5, v2, s0
	s_and_b32 s0, s0, exec_lo
	s_or_b32 s1, s1, s0
	s_delay_alu instid0(VALU_DEP_1) | instskip(SKIP_1) | instid1(VALU_DEP_2)
	v_cmp_class_f64_e64 s6, v[2:3], 32
	v_dual_mov_b32 v2, v5 :: v_dual_mov_b32 v3, v6
	s_and_b32 s6, s6, exec_lo
	s_delay_alu instid0(SALU_CYCLE_1)
	s_or_b32 s3, s3, s6
                                        ; implicit-def: $sgpr6
	s_branch .LBB21_82
.LBB21_85:
	s_set_inst_prefetch_distance 0x2
	s_endpgm
	.section	.rodata,"a",@progbits
	.p2align	6, 0x0
	.amdhsa_kernel _ZN9rocsparseL16kernel_calculateILi1024ELi2ELb1EdiiEEvT4_T3_PKS2_S4_PKS1_PKT2_21rocsparse_index_base_S4_S4_S6_S4_S4_S6_S4_PS7_PNS_15floating_traitsIS7_E6data_tEPKSE_
		.amdhsa_group_segment_fixed_size 4096
		.amdhsa_private_segment_fixed_size 0
		.amdhsa_kernarg_size 128
		.amdhsa_user_sgpr_count 15
		.amdhsa_user_sgpr_dispatch_ptr 0
		.amdhsa_user_sgpr_queue_ptr 0
		.amdhsa_user_sgpr_kernarg_segment_ptr 1
		.amdhsa_user_sgpr_dispatch_id 0
		.amdhsa_user_sgpr_private_segment_size 0
		.amdhsa_wavefront_size32 1
		.amdhsa_uses_dynamic_stack 0
		.amdhsa_enable_private_segment 0
		.amdhsa_system_sgpr_workgroup_id_x 1
		.amdhsa_system_sgpr_workgroup_id_y 0
		.amdhsa_system_sgpr_workgroup_id_z 0
		.amdhsa_system_sgpr_workgroup_info 0
		.amdhsa_system_vgpr_workitem_id 0
		.amdhsa_next_free_vgpr 40
		.amdhsa_next_free_sgpr 36
		.amdhsa_reserve_vcc 1
		.amdhsa_float_round_mode_32 0
		.amdhsa_float_round_mode_16_64 0
		.amdhsa_float_denorm_mode_32 3
		.amdhsa_float_denorm_mode_16_64 3
		.amdhsa_dx10_clamp 1
		.amdhsa_ieee_mode 1
		.amdhsa_fp16_overflow 0
		.amdhsa_workgroup_processor_mode 1
		.amdhsa_memory_ordered 1
		.amdhsa_forward_progress 0
		.amdhsa_shared_vgpr_count 0
		.amdhsa_exception_fp_ieee_invalid_op 0
		.amdhsa_exception_fp_denorm_src 0
		.amdhsa_exception_fp_ieee_div_zero 0
		.amdhsa_exception_fp_ieee_overflow 0
		.amdhsa_exception_fp_ieee_underflow 0
		.amdhsa_exception_fp_ieee_inexact 0
		.amdhsa_exception_int_div_zero 0
	.end_amdhsa_kernel
	.section	.text._ZN9rocsparseL16kernel_calculateILi1024ELi2ELb1EdiiEEvT4_T3_PKS2_S4_PKS1_PKT2_21rocsparse_index_base_S4_S4_S6_S4_S4_S6_S4_PS7_PNS_15floating_traitsIS7_E6data_tEPKSE_,"axG",@progbits,_ZN9rocsparseL16kernel_calculateILi1024ELi2ELb1EdiiEEvT4_T3_PKS2_S4_PKS1_PKT2_21rocsparse_index_base_S4_S4_S6_S4_S4_S6_S4_PS7_PNS_15floating_traitsIS7_E6data_tEPKSE_,comdat
.Lfunc_end21:
	.size	_ZN9rocsparseL16kernel_calculateILi1024ELi2ELb1EdiiEEvT4_T3_PKS2_S4_PKS1_PKT2_21rocsparse_index_base_S4_S4_S6_S4_S4_S6_S4_PS7_PNS_15floating_traitsIS7_E6data_tEPKSE_, .Lfunc_end21-_ZN9rocsparseL16kernel_calculateILi1024ELi2ELb1EdiiEEvT4_T3_PKS2_S4_PKS1_PKT2_21rocsparse_index_base_S4_S4_S6_S4_S4_S6_S4_PS7_PNS_15floating_traitsIS7_E6data_tEPKSE_
                                        ; -- End function
	.section	.AMDGPU.csdata,"",@progbits
; Kernel info:
; codeLenInByte = 4524
; NumSgprs: 38
; NumVgprs: 40
; ScratchSize: 0
; MemoryBound: 1
; FloatMode: 240
; IeeeMode: 1
; LDSByteSize: 4096 bytes/workgroup (compile time only)
; SGPRBlocks: 4
; VGPRBlocks: 4
; NumSGPRsForWavesPerEU: 38
; NumVGPRsForWavesPerEU: 40
; Occupancy: 16
; WaveLimiterHint : 1
; COMPUTE_PGM_RSRC2:SCRATCH_EN: 0
; COMPUTE_PGM_RSRC2:USER_SGPR: 15
; COMPUTE_PGM_RSRC2:TRAP_HANDLER: 0
; COMPUTE_PGM_RSRC2:TGID_X_EN: 1
; COMPUTE_PGM_RSRC2:TGID_Y_EN: 0
; COMPUTE_PGM_RSRC2:TGID_Z_EN: 0
; COMPUTE_PGM_RSRC2:TIDIG_COMP_CNT: 0
	.section	.text._ZN9rocsparseL16kernel_calculateILi1024ELi4ELb1EdiiEEvT4_T3_PKS2_S4_PKS1_PKT2_21rocsparse_index_base_S4_S4_S6_S4_S4_S6_S4_PS7_PNS_15floating_traitsIS7_E6data_tEPKSE_,"axG",@progbits,_ZN9rocsparseL16kernel_calculateILi1024ELi4ELb1EdiiEEvT4_T3_PKS2_S4_PKS1_PKT2_21rocsparse_index_base_S4_S4_S6_S4_S4_S6_S4_PS7_PNS_15floating_traitsIS7_E6data_tEPKSE_,comdat
	.globl	_ZN9rocsparseL16kernel_calculateILi1024ELi4ELb1EdiiEEvT4_T3_PKS2_S4_PKS1_PKT2_21rocsparse_index_base_S4_S4_S6_S4_S4_S6_S4_PS7_PNS_15floating_traitsIS7_E6data_tEPKSE_ ; -- Begin function _ZN9rocsparseL16kernel_calculateILi1024ELi4ELb1EdiiEEvT4_T3_PKS2_S4_PKS1_PKT2_21rocsparse_index_base_S4_S4_S6_S4_S4_S6_S4_PS7_PNS_15floating_traitsIS7_E6data_tEPKSE_
	.p2align	8
	.type	_ZN9rocsparseL16kernel_calculateILi1024ELi4ELb1EdiiEEvT4_T3_PKS2_S4_PKS1_PKT2_21rocsparse_index_base_S4_S4_S6_S4_S4_S6_S4_PS7_PNS_15floating_traitsIS7_E6data_tEPKSE_,@function
_ZN9rocsparseL16kernel_calculateILi1024ELi4ELb1EdiiEEvT4_T3_PKS2_S4_PKS1_PKT2_21rocsparse_index_base_S4_S4_S6_S4_S4_S6_S4_PS7_PNS_15floating_traitsIS7_E6data_tEPKSE_: ; @_ZN9rocsparseL16kernel_calculateILi1024ELi4ELb1EdiiEEvT4_T3_PKS2_S4_PKS1_PKT2_21rocsparse_index_base_S4_S4_S6_S4_S4_S6_S4_PS7_PNS_15floating_traitsIS7_E6data_tEPKSE_
; %bb.0:
	s_load_b32 s5, s[0:1], 0x0
	v_lshrrev_b32_e32 v25, 2, v0
	v_dual_mov_b32 v1, 0 :: v_dual_and_b32 v26, 3, v0
	v_mov_b32_e32 v2, 0
	s_mov_b32 s6, exec_lo
	s_delay_alu instid0(VALU_DEP_3) | instskip(SKIP_1) | instid1(VALU_DEP_1)
	v_lshl_or_b32 v27, s15, 10, v25
	s_waitcnt lgkmcnt(0)
	v_cmpx_gt_i32_e64 s5, v27
	s_cbranch_execz .LBB22_33
; %bb.1:
	s_clause 0x3
	s_load_b32 s7, s[0:1], 0x28
	s_load_b256 s[8:15], s[0:1], 0x50
	s_load_b256 s[16:23], s[0:1], 0x30
	;; [unrolled: 1-line block ×3, first 2 shown]
	v_mov_b32_e32 v1, 0
	v_mov_b32_e32 v2, 0
	s_mov_b32 s33, 0
	s_waitcnt lgkmcnt(0)
	v_subrev_nc_u32_e32 v28, s7, v26
	s_branch .LBB22_5
.LBB22_2:                               ;   in Loop: Header=BB22_5 Depth=1
	s_or_b32 exec_lo, exec_lo, s36
.LBB22_3:                               ;   in Loop: Header=BB22_5 Depth=1
	s_delay_alu instid0(SALU_CYCLE_1)
	s_or_b32 exec_lo, exec_lo, s35
.LBB22_4:                               ;   in Loop: Header=BB22_5 Depth=1
	s_delay_alu instid0(SALU_CYCLE_1) | instskip(SKIP_1) | instid1(SALU_CYCLE_1)
	s_or_b32 exec_lo, exec_lo, s34
	s_add_i32 s33, s33, 1
	s_cmp_lg_u32 s33, 4
	s_cbranch_scc0 .LBB22_33
.LBB22_5:                               ; =>This Loop Header: Depth=1
                                        ;     Child Loop BB22_9 Depth 2
                                        ;       Child Loop BB22_12 Depth 3
                                        ;       Child Loop BB22_18 Depth 3
	;; [unrolled: 1-line block ×3, first 2 shown]
	v_lshl_add_u32 v3, s33, 8, v27
	s_mov_b32 s34, exec_lo
	s_delay_alu instid0(VALU_DEP_1)
	v_cmpx_gt_i32_e64 s5, v3
	s_cbranch_execz .LBB22_4
; %bb.6:                                ;   in Loop: Header=BB22_5 Depth=1
	v_ashrrev_i32_e32 v4, 31, v3
	s_mov_b32 s35, exec_lo
	s_delay_alu instid0(VALU_DEP_1) | instskip(NEXT) | instid1(VALU_DEP_1)
	v_lshlrev_b64 v[5:6], 2, v[3:4]
	v_add_co_u32 v7, vcc_lo, s26, v5
	s_delay_alu instid0(VALU_DEP_2)
	v_add_co_ci_u32_e32 v8, vcc_lo, s27, v6, vcc_lo
	v_add_co_u32 v9, vcc_lo, s24, v5
	v_add_co_ci_u32_e32 v10, vcc_lo, s25, v6, vcc_lo
	global_load_b32 v4, v[7:8], off
	global_load_b32 v7, v[9:10], off
	s_waitcnt vmcnt(1)
	v_subrev_nc_u32_e32 v29, s7, v4
	s_waitcnt vmcnt(0)
	v_add_nc_u32_e32 v4, v28, v7
	s_delay_alu instid0(VALU_DEP_1)
	v_cmpx_lt_i32_e64 v4, v29
	s_cbranch_execz .LBB22_3
; %bb.7:                                ;   in Loop: Header=BB22_5 Depth=1
	v_add_co_u32 v7, vcc_lo, s18, v5
	v_add_co_ci_u32_e32 v8, vcc_lo, s19, v6, vcc_lo
	v_add_co_u32 v5, vcc_lo, s16, v5
	v_add_co_ci_u32_e32 v6, vcc_lo, s17, v6, vcc_lo
	s_mov_b32 s36, 0
	global_load_b32 v7, v[7:8], off
	global_load_b32 v5, v[5:6], off
	s_waitcnt vmcnt(1)
	v_subrev_nc_u32_e32 v30, s7, v7
	s_waitcnt vmcnt(0)
	v_subrev_nc_u32_e32 v31, s7, v5
	v_cmp_lt_i32_e64 s2, v5, v7
	s_branch .LBB22_9
.LBB22_8:                               ;   in Loop: Header=BB22_9 Depth=2
	s_or_b32 exec_lo, exec_lo, s3
	v_add_f64 v[7:8], v[9:10], v[17:18]
	v_cmp_eq_u32_e32 vcc_lo, v3, v6
	v_add_nc_u32_e32 v4, 4, v4
	s_delay_alu instid0(VALU_DEP_1) | instskip(NEXT) | instid1(VALU_DEP_4)
	v_cmp_ge_i32_e64 s4, v4, v29
	v_dual_cndmask_b32 v6, v18, v8 :: v_dual_cndmask_b32 v5, v17, v7
	s_delay_alu instid0(VALU_DEP_1) | instskip(NEXT) | instid1(VALU_DEP_1)
	v_and_b32_e32 v6, 0x7fffffff, v6
	v_cmp_nlg_f64_e32 vcc_lo, 0x7ff00000, v[5:6]
	v_cmp_gt_f64_e64 s3, v[1:2], v[5:6]
	s_delay_alu instid0(VALU_DEP_1)
	s_or_b32 vcc_lo, vcc_lo, s3
	s_or_b32 s36, s4, s36
	v_dual_cndmask_b32 v1, v5, v1 :: v_dual_cndmask_b32 v2, v6, v2
	s_and_not1_b32 exec_lo, exec_lo, s36
	s_cbranch_execz .LBB22_2
.LBB22_9:                               ;   Parent Loop BB22_5 Depth=1
                                        ; =>  This Loop Header: Depth=2
                                        ;       Child Loop BB22_12 Depth 3
                                        ;       Child Loop BB22_18 Depth 3
	;; [unrolled: 1-line block ×3, first 2 shown]
	v_ashrrev_i32_e32 v5, 31, v4
	s_delay_alu instid0(VALU_DEP_1) | instskip(NEXT) | instid1(VALU_DEP_1)
	v_lshlrev_b64 v[6:7], 2, v[4:5]
	v_add_co_u32 v6, vcc_lo, s28, v6
	s_delay_alu instid0(VALU_DEP_2) | instskip(SKIP_3) | instid1(VALU_DEP_1)
	v_add_co_ci_u32_e32 v7, vcc_lo, s29, v7, vcc_lo
	global_load_b32 v32, v[6:7], off
	s_waitcnt vmcnt(0)
	v_subrev_nc_u32_e32 v6, s7, v32
	v_ashrrev_i32_e32 v7, 31, v6
	s_delay_alu instid0(VALU_DEP_1) | instskip(NEXT) | instid1(VALU_DEP_1)
	v_lshlrev_b64 v[9:10], 2, v[6:7]
	v_add_co_u32 v7, vcc_lo, s18, v9
	s_delay_alu instid0(VALU_DEP_2)
	v_add_co_ci_u32_e32 v8, vcc_lo, s19, v10, vcc_lo
	v_add_co_u32 v13, vcc_lo, s8, v9
	v_add_co_ci_u32_e32 v14, vcc_lo, s9, v10, vcc_lo
	global_load_b32 v11, v[7:8], off
	v_lshlrev_b64 v[7:8], 3, v[4:5]
	v_add_co_u32 v9, vcc_lo, s22, v9
	v_add_co_ci_u32_e32 v10, vcc_lo, s23, v10, vcc_lo
	global_load_b32 v13, v[13:14], off
	global_load_b32 v14, v[9:10], off
	v_add_co_u32 v15, vcc_lo, s30, v7
	v_add_co_ci_u32_e32 v16, vcc_lo, s31, v8, vcc_lo
	s_waitcnt vmcnt(2)
	v_subrev_nc_u32_e32 v11, s7, v11
	s_delay_alu instid0(VALU_DEP_1)
	v_ashrrev_i32_e32 v12, 31, v11
	s_waitcnt vmcnt(1)
	v_subrev_nc_u32_e32 v5, s7, v13
	s_waitcnt vmcnt(0)
	v_subrev_nc_u32_e32 v19, s7, v14
	v_lshlrev_b64 v[11:12], 3, v[11:12]
	s_delay_alu instid0(VALU_DEP_1) | instskip(NEXT) | instid1(VALU_DEP_2)
	v_add_co_u32 v9, vcc_lo, s14, v11
	v_add_co_ci_u32_e32 v10, vcc_lo, s15, v12, vcc_lo
	v_cmp_lt_i32_e32 vcc_lo, v14, v13
	global_load_b64 v[11:12], v[15:16], off
	global_load_b64 v[9:10], v[9:10], off
	v_mov_b32_e32 v13, 0
	v_dual_mov_b32 v14, 0 :: v_dual_mov_b32 v15, v31
	s_and_b32 s3, s2, vcc_lo
	s_delay_alu instid0(SALU_CYCLE_1)
	s_and_saveexec_b32 s4, s3
	s_cbranch_execz .LBB22_15
; %bb.10:                               ;   in Loop: Header=BB22_9 Depth=2
	v_mov_b32_e32 v13, 0
	v_dual_mov_b32 v14, 0 :: v_dual_mov_b32 v15, v31
	s_mov_b32 s37, 0
	s_branch .LBB22_12
.LBB22_11:                              ;   in Loop: Header=BB22_12 Depth=3
	s_or_b32 exec_lo, exec_lo, s3
	v_cmp_le_i32_e32 vcc_lo, v20, v21
	v_add_co_ci_u32_e32 v15, vcc_lo, 0, v15, vcc_lo
	v_cmp_ge_i32_e32 vcc_lo, v20, v21
	v_add_co_ci_u32_e32 v19, vcc_lo, 0, v19, vcc_lo
	s_delay_alu instid0(VALU_DEP_3) | instskip(NEXT) | instid1(VALU_DEP_2)
	v_cmp_ge_i32_e32 vcc_lo, v15, v30
	v_cmp_ge_i32_e64 s3, v19, v5
	s_delay_alu instid0(VALU_DEP_1) | instskip(NEXT) | instid1(SALU_CYCLE_1)
	s_or_b32 s3, vcc_lo, s3
	s_and_b32 s3, exec_lo, s3
	s_delay_alu instid0(SALU_CYCLE_1) | instskip(NEXT) | instid1(SALU_CYCLE_1)
	s_or_b32 s37, s3, s37
	s_and_not1_b32 exec_lo, exec_lo, s37
	s_cbranch_execz .LBB22_14
.LBB22_12:                              ;   Parent Loop BB22_5 Depth=1
                                        ;     Parent Loop BB22_9 Depth=2
                                        ; =>    This Inner Loop Header: Depth=3
	s_delay_alu instid0(VALU_DEP_1) | instskip(SKIP_2) | instid1(VALU_DEP_2)
	v_ashrrev_i32_e32 v16, 31, v15
	v_ashrrev_i32_e32 v20, 31, v19
	s_mov_b32 s3, exec_lo
	v_lshlrev_b64 v[21:22], 2, v[15:16]
	s_delay_alu instid0(VALU_DEP_2) | instskip(NEXT) | instid1(VALU_DEP_2)
	v_lshlrev_b64 v[17:18], 2, v[19:20]
	v_add_co_u32 v20, vcc_lo, s20, v21
	s_delay_alu instid0(VALU_DEP_3) | instskip(NEXT) | instid1(VALU_DEP_3)
	v_add_co_ci_u32_e32 v21, vcc_lo, s21, v22, vcc_lo
	v_add_co_u32 v22, vcc_lo, s10, v17
	s_delay_alu instid0(VALU_DEP_4)
	v_add_co_ci_u32_e32 v23, vcc_lo, s11, v18, vcc_lo
	global_load_b32 v20, v[20:21], off
	global_load_b32 v21, v[22:23], off
	s_waitcnt vmcnt(0)
	v_cmpx_eq_u32_e64 v20, v21
	s_cbranch_execz .LBB22_11
; %bb.13:                               ;   in Loop: Header=BB22_12 Depth=3
	v_add_co_u32 v17, vcc_lo, s12, v17
	v_add_co_ci_u32_e32 v18, vcc_lo, s13, v18, vcc_lo
	v_lshlrev_b64 v[22:23], 3, v[15:16]
	global_load_b32 v17, v[17:18], off
	v_add_co_u32 v22, vcc_lo, s14, v22
	v_add_co_ci_u32_e32 v23, vcc_lo, s15, v23, vcc_lo
	s_waitcnt vmcnt(0)
	v_ashrrev_i32_e32 v18, 31, v17
	s_delay_alu instid0(VALU_DEP_1) | instskip(NEXT) | instid1(VALU_DEP_1)
	v_lshlrev_b64 v[16:17], 3, v[17:18]
	v_add_co_u32 v16, vcc_lo, s14, v16
	s_delay_alu instid0(VALU_DEP_2)
	v_add_co_ci_u32_e32 v17, vcc_lo, s15, v17, vcc_lo
	s_clause 0x1
	global_load_b64 v[22:23], v[22:23], off
	global_load_b64 v[16:17], v[16:17], off
	s_waitcnt vmcnt(0)
	v_fma_f64 v[13:14], v[22:23], v[16:17], v[13:14]
	s_branch .LBB22_11
.LBB22_14:                              ;   in Loop: Header=BB22_9 Depth=2
	s_or_b32 exec_lo, exec_lo, s37
.LBB22_15:                              ;   in Loop: Header=BB22_9 Depth=2
	s_delay_alu instid0(SALU_CYCLE_1)
	s_or_b32 exec_lo, exec_lo, s4
	s_waitcnt vmcnt(1)
	v_add_f64 v[17:18], v[13:14], -v[11:12]
	s_mov_b32 s4, exec_lo
	v_cmpx_lt_i32_e64 v19, v5
	s_cbranch_execz .LBB22_23
; %bb.16:                               ;   in Loop: Header=BB22_9 Depth=2
	v_ashrrev_i32_e32 v20, 31, v19
	s_mov_b32 s37, 0
                                        ; implicit-def: $sgpr38
                                        ; implicit-def: $sgpr40
                                        ; implicit-def: $sgpr39
	s_delay_alu instid0(VALU_DEP_1) | instskip(NEXT) | instid1(VALU_DEP_1)
	v_lshlrev_b64 v[21:22], 2, v[19:20]
	v_add_co_u32 v21, vcc_lo, s10, v21
	s_delay_alu instid0(VALU_DEP_2)
	v_add_co_ci_u32_e32 v22, vcc_lo, s11, v22, vcc_lo
	s_set_inst_prefetch_distance 0x1
	s_branch .LBB22_18
	.p2align	6
.LBB22_17:                              ;   in Loop: Header=BB22_18 Depth=3
	s_or_b32 exec_lo, exec_lo, s41
	s_delay_alu instid0(SALU_CYCLE_1) | instskip(NEXT) | instid1(SALU_CYCLE_1)
	s_and_b32 s3, exec_lo, s40
	s_or_b32 s37, s3, s37
	s_and_not1_b32 s3, s38, exec_lo
	s_and_b32 s38, s39, exec_lo
	s_delay_alu instid0(SALU_CYCLE_1)
	s_or_b32 s38, s3, s38
	s_and_not1_b32 exec_lo, exec_lo, s37
	s_cbranch_execz .LBB22_20
.LBB22_18:                              ;   Parent Loop BB22_5 Depth=1
                                        ;     Parent Loop BB22_9 Depth=2
                                        ; =>    This Inner Loop Header: Depth=3
	global_load_b32 v16, v[21:22], off
	v_dual_mov_b32 v24, v20 :: v_dual_mov_b32 v23, v19
	s_or_b32 s39, s39, exec_lo
	s_or_b32 s40, s40, exec_lo
	s_mov_b32 s41, exec_lo
                                        ; implicit-def: $vgpr19_vgpr20
	s_waitcnt vmcnt(0)
	v_subrev_nc_u32_e32 v16, s7, v16
	s_delay_alu instid0(VALU_DEP_1)
	v_cmpx_ne_u32_e64 v16, v3
	s_cbranch_execz .LBB22_17
; %bb.19:                               ;   in Loop: Header=BB22_18 Depth=3
	v_add_co_u32 v19, vcc_lo, v23, 1
	v_add_co_ci_u32_e32 v20, vcc_lo, 0, v24, vcc_lo
	v_add_co_u32 v21, s3, v21, 4
	s_delay_alu instid0(VALU_DEP_3) | instskip(SKIP_4) | instid1(SALU_CYCLE_1)
	v_cmp_ge_i32_e32 vcc_lo, v19, v5
	v_add_co_ci_u32_e64 v22, s3, 0, v22, s3
	s_and_not1_b32 s3, s40, exec_lo
	s_and_not1_b32 s39, s39, exec_lo
	s_and_b32 s40, vcc_lo, exec_lo
	s_or_b32 s40, s3, s40
	s_branch .LBB22_17
.LBB22_20:                              ;   in Loop: Header=BB22_9 Depth=2
	s_set_inst_prefetch_distance 0x2
	s_or_b32 exec_lo, exec_lo, s37
	s_and_saveexec_b32 s3, s38
	s_delay_alu instid0(SALU_CYCLE_1)
	s_xor_b32 s3, exec_lo, s3
	s_cbranch_execz .LBB22_22
; %bb.21:                               ;   in Loop: Header=BB22_9 Depth=2
	v_lshlrev_b64 v[19:20], 2, v[23:24]
	s_delay_alu instid0(VALU_DEP_1) | instskip(NEXT) | instid1(VALU_DEP_2)
	v_add_co_u32 v19, vcc_lo, s12, v19
	v_add_co_ci_u32_e32 v20, vcc_lo, s13, v20, vcc_lo
	global_load_b32 v19, v[19:20], off
	s_waitcnt vmcnt(0)
	v_ashrrev_i32_e32 v20, 31, v19
	s_delay_alu instid0(VALU_DEP_1) | instskip(NEXT) | instid1(VALU_DEP_1)
	v_lshlrev_b64 v[19:20], 3, v[19:20]
	v_add_co_u32 v19, vcc_lo, s14, v19
	s_delay_alu instid0(VALU_DEP_2)
	v_add_co_ci_u32_e32 v20, vcc_lo, s15, v20, vcc_lo
	global_load_b64 v[19:20], v[19:20], off
	s_waitcnt vmcnt(0)
	v_add_f64 v[17:18], v[17:18], v[19:20]
.LBB22_22:                              ;   in Loop: Header=BB22_9 Depth=2
	s_or_b32 exec_lo, exec_lo, s3
.LBB22_23:                              ;   in Loop: Header=BB22_9 Depth=2
	s_delay_alu instid0(SALU_CYCLE_1) | instskip(NEXT) | instid1(SALU_CYCLE_1)
	s_or_b32 exec_lo, exec_lo, s4
	s_mov_b32 s4, exec_lo
	v_cmpx_lt_i32_e64 v15, v30
	s_cbranch_execz .LBB22_31
; %bb.24:                               ;   in Loop: Header=BB22_9 Depth=2
	v_ashrrev_i32_e32 v16, 31, v15
	s_mov_b32 s37, 0
                                        ; implicit-def: $sgpr38
                                        ; implicit-def: $sgpr40
                                        ; implicit-def: $sgpr39
	s_delay_alu instid0(VALU_DEP_1) | instskip(NEXT) | instid1(VALU_DEP_1)
	v_lshlrev_b64 v[19:20], 2, v[15:16]
	v_add_co_u32 v19, vcc_lo, s20, v19
	s_delay_alu instid0(VALU_DEP_2)
	v_add_co_ci_u32_e32 v20, vcc_lo, s21, v20, vcc_lo
	s_set_inst_prefetch_distance 0x1
	s_branch .LBB22_26
	.p2align	6
.LBB22_25:                              ;   in Loop: Header=BB22_26 Depth=3
	s_or_b32 exec_lo, exec_lo, s41
	s_delay_alu instid0(SALU_CYCLE_1) | instskip(NEXT) | instid1(SALU_CYCLE_1)
	s_and_b32 s3, exec_lo, s40
	s_or_b32 s37, s3, s37
	s_and_not1_b32 s3, s38, exec_lo
	s_and_b32 s38, s39, exec_lo
	s_delay_alu instid0(SALU_CYCLE_1)
	s_or_b32 s38, s3, s38
	s_and_not1_b32 exec_lo, exec_lo, s37
	s_cbranch_execz .LBB22_28
.LBB22_26:                              ;   Parent Loop BB22_5 Depth=1
                                        ;     Parent Loop BB22_9 Depth=2
                                        ; =>    This Inner Loop Header: Depth=3
	global_load_b32 v5, v[19:20], off
	v_dual_mov_b32 v22, v16 :: v_dual_mov_b32 v21, v15
	s_or_b32 s39, s39, exec_lo
	s_or_b32 s40, s40, exec_lo
	s_mov_b32 s41, exec_lo
                                        ; implicit-def: $vgpr15_vgpr16
	s_waitcnt vmcnt(0)
	v_cmpx_ne_u32_e64 v5, v32
	s_cbranch_execz .LBB22_25
; %bb.27:                               ;   in Loop: Header=BB22_26 Depth=3
	v_add_co_u32 v15, vcc_lo, v21, 1
	v_add_co_ci_u32_e32 v16, vcc_lo, 0, v22, vcc_lo
	v_add_co_u32 v19, s3, v19, 4
	s_delay_alu instid0(VALU_DEP_3) | instskip(SKIP_4) | instid1(SALU_CYCLE_1)
	v_cmp_ge_i32_e32 vcc_lo, v15, v30
	v_add_co_ci_u32_e64 v20, s3, 0, v20, s3
	s_and_not1_b32 s3, s40, exec_lo
	s_and_not1_b32 s39, s39, exec_lo
	s_and_b32 s40, vcc_lo, exec_lo
	s_or_b32 s40, s3, s40
	s_branch .LBB22_25
.LBB22_28:                              ;   in Loop: Header=BB22_9 Depth=2
	s_set_inst_prefetch_distance 0x2
	s_or_b32 exec_lo, exec_lo, s37
	s_and_saveexec_b32 s3, s38
	s_delay_alu instid0(SALU_CYCLE_1)
	s_xor_b32 s3, exec_lo, s3
	s_cbranch_execz .LBB22_30
; %bb.29:                               ;   in Loop: Header=BB22_9 Depth=2
	v_lshlrev_b64 v[15:16], 3, v[21:22]
	s_delay_alu instid0(VALU_DEP_1) | instskip(NEXT) | instid1(VALU_DEP_2)
	v_add_co_u32 v15, vcc_lo, s14, v15
	v_add_co_ci_u32_e32 v16, vcc_lo, s15, v16, vcc_lo
	global_load_b64 v[15:16], v[15:16], off
	s_waitcnt vmcnt(0)
	v_fma_f64 v[17:18], v[15:16], v[9:10], v[17:18]
.LBB22_30:                              ;   in Loop: Header=BB22_9 Depth=2
	s_or_b32 exec_lo, exec_lo, s3
.LBB22_31:                              ;   in Loop: Header=BB22_9 Depth=2
	s_delay_alu instid0(SALU_CYCLE_1) | instskip(SKIP_2) | instid1(VALU_DEP_1)
	s_or_b32 exec_lo, exec_lo, s4
	v_add_f64 v[11:12], v[11:12], -v[13:14]
	s_waitcnt vmcnt(0)
	v_div_scale_f64 v[13:14], null, v[9:10], v[9:10], v[11:12]
	v_div_scale_f64 v[21:22], vcc_lo, v[11:12], v[9:10], v[11:12]
	s_delay_alu instid0(VALU_DEP_2) | instskip(SKIP_2) | instid1(VALU_DEP_1)
	v_rcp_f64_e32 v[15:16], v[13:14]
	s_waitcnt_depctr 0xfff
	v_fma_f64 v[19:20], -v[13:14], v[15:16], 1.0
	v_fma_f64 v[15:16], v[15:16], v[19:20], v[15:16]
	s_delay_alu instid0(VALU_DEP_1) | instskip(NEXT) | instid1(VALU_DEP_1)
	v_fma_f64 v[19:20], -v[13:14], v[15:16], 1.0
	v_fma_f64 v[15:16], v[15:16], v[19:20], v[15:16]
	s_delay_alu instid0(VALU_DEP_1) | instskip(NEXT) | instid1(VALU_DEP_1)
	v_mul_f64 v[19:20], v[21:22], v[15:16]
	v_fma_f64 v[13:14], -v[13:14], v[19:20], v[21:22]
	s_delay_alu instid0(VALU_DEP_1) | instskip(SKIP_1) | instid1(VALU_DEP_2)
	v_div_fmas_f64 v[13:14], v[13:14], v[15:16], v[19:20]
	v_cmp_gt_i32_e32 vcc_lo, v3, v6
	v_div_fixup_f64 v[13:14], v[13:14], v[9:10], v[11:12]
	s_delay_alu instid0(VALU_DEP_1) | instskip(NEXT) | instid1(VALU_DEP_1)
	v_dual_cndmask_b32 v12, v12, v14 :: v_dual_cndmask_b32 v11, v11, v13
	v_cmp_class_f64_e64 s4, v[11:12], 0x1f8
	s_delay_alu instid0(VALU_DEP_1)
	s_and_saveexec_b32 s3, s4
	s_cbranch_execz .LBB22_8
; %bb.32:                               ;   in Loop: Header=BB22_9 Depth=2
	v_add_co_u32 v7, vcc_lo, s14, v7
	v_add_co_ci_u32_e32 v8, vcc_lo, s15, v8, vcc_lo
	global_store_b64 v[7:8], v[11:12], off
	s_branch .LBB22_8
.LBB22_33:
	s_or_b32 exec_lo, exec_lo, s6
	v_mbcnt_lo_u32_b32 v5, -1, 0
	s_delay_alu instid0(VALU_DEP_1) | instskip(SKIP_1) | instid1(VALU_DEP_2)
	v_xor_b32_e32 v3, 2, v5
	v_xor_b32_e32 v6, 1, v5
	v_cmp_gt_i32_e32 vcc_lo, 32, v3
	s_delay_alu instid0(VALU_DEP_2) | instskip(SKIP_1) | instid1(VALU_DEP_2)
	v_cmp_gt_i32_e64 s2, 32, v6
	v_cndmask_b32_e32 v3, v5, v3, vcc_lo
	v_cndmask_b32_e64 v5, v5, v6, s2
	s_mov_b32 s2, exec_lo
	s_delay_alu instid0(VALU_DEP_2) | instskip(NEXT) | instid1(VALU_DEP_2)
	v_lshlrev_b32_e32 v4, 2, v3
	v_lshlrev_b32_e32 v5, 2, v5
	ds_bpermute_b32 v3, v4, v1
	ds_bpermute_b32 v4, v4, v2
	s_waitcnt lgkmcnt(0)
	v_cmp_lt_f64_e32 vcc_lo, v[1:2], v[3:4]
	v_dual_cndmask_b32 v2, v2, v4 :: v_dual_cndmask_b32 v1, v1, v3
	ds_bpermute_b32 v4, v5, v2
	ds_bpermute_b32 v3, v5, v1
	v_cmpx_eq_u32_e32 3, v26
	s_cbranch_execz .LBB22_35
; %bb.34:
	s_waitcnt lgkmcnt(0)
	v_cmp_lt_f64_e32 vcc_lo, v[1:2], v[3:4]
	v_dual_cndmask_b32 v2, v2, v4 :: v_dual_lshlrev_b32 v5, 3, v25
	v_cndmask_b32_e32 v1, v1, v3, vcc_lo
	ds_store_b64 v5, v[1:2]
.LBB22_35:
	s_or_b32 exec_lo, exec_lo, s2
	v_lshlrev_b32_e32 v1, 3, v0
	s_mov_b32 s2, exec_lo
	s_waitcnt lgkmcnt(0)
	s_waitcnt_vscnt null, 0x0
	s_barrier
	buffer_gl0_inv
	v_cmpx_gt_u32_e32 0x80, v0
	s_cbranch_execz .LBB22_37
; %bb.36:
	ds_load_2addr_stride64_b64 v[2:5], v1 offset1:2
	s_waitcnt lgkmcnt(0)
	v_cmp_lt_f64_e32 vcc_lo, v[2:3], v[4:5]
	v_dual_cndmask_b32 v3, v3, v5 :: v_dual_cndmask_b32 v2, v2, v4
	ds_store_b64 v1, v[2:3]
.LBB22_37:
	s_or_b32 exec_lo, exec_lo, s2
	s_delay_alu instid0(SALU_CYCLE_1)
	s_mov_b32 s2, exec_lo
	s_waitcnt lgkmcnt(0)
	s_barrier
	buffer_gl0_inv
	v_cmpx_gt_u32_e32 64, v0
	s_cbranch_execz .LBB22_39
; %bb.38:
	ds_load_2addr_stride64_b64 v[2:5], v1 offset1:1
	s_waitcnt lgkmcnt(0)
	v_cmp_lt_f64_e32 vcc_lo, v[2:3], v[4:5]
	v_dual_cndmask_b32 v3, v3, v5 :: v_dual_cndmask_b32 v2, v2, v4
	ds_store_b64 v1, v[2:3]
.LBB22_39:
	s_or_b32 exec_lo, exec_lo, s2
	s_delay_alu instid0(SALU_CYCLE_1)
	s_mov_b32 s2, exec_lo
	s_waitcnt lgkmcnt(0)
	s_barrier
	buffer_gl0_inv
	v_cmpx_gt_u32_e32 32, v0
	s_cbranch_execz .LBB22_41
; %bb.40:
	ds_load_2addr_b64 v[2:5], v1 offset1:32
	s_waitcnt lgkmcnt(0)
	v_cmp_lt_f64_e32 vcc_lo, v[2:3], v[4:5]
	v_dual_cndmask_b32 v3, v3, v5 :: v_dual_cndmask_b32 v2, v2, v4
	ds_store_b64 v1, v[2:3]
.LBB22_41:
	s_or_b32 exec_lo, exec_lo, s2
	s_delay_alu instid0(SALU_CYCLE_1)
	s_mov_b32 s2, exec_lo
	s_waitcnt lgkmcnt(0)
	s_barrier
	buffer_gl0_inv
	v_cmpx_gt_u32_e32 16, v0
	s_cbranch_execz .LBB22_43
; %bb.42:
	ds_load_2addr_b64 v[2:5], v1 offset1:16
	s_waitcnt lgkmcnt(0)
	v_cmp_lt_f64_e32 vcc_lo, v[2:3], v[4:5]
	v_dual_cndmask_b32 v3, v3, v5 :: v_dual_cndmask_b32 v2, v2, v4
	ds_store_b64 v1, v[2:3]
.LBB22_43:
	;; [unrolled: 15-line block ×5, first 2 shown]
	s_or_b32 exec_lo, exec_lo, s2
	v_cmp_eq_u32_e32 vcc_lo, 0, v0
	s_waitcnt lgkmcnt(0)
	s_barrier
	buffer_gl0_inv
	s_and_saveexec_b32 s3, vcc_lo
	s_cbranch_execz .LBB22_51
; %bb.50:
	v_mov_b32_e32 v4, 0
	ds_load_b128 v[0:3], v4
	s_waitcnt lgkmcnt(0)
	v_cmp_lt_f64_e64 s2, v[0:1], v[2:3]
	s_delay_alu instid0(VALU_DEP_1)
	v_cndmask_b32_e64 v1, v1, v3, s2
	v_cndmask_b32_e64 v0, v0, v2, s2
	ds_store_b64 v4, v[0:1]
.LBB22_51:
	s_or_b32 exec_lo, exec_lo, s3
	s_waitcnt lgkmcnt(0)
	s_barrier
	buffer_gl0_inv
	s_and_saveexec_b32 s2, vcc_lo
	s_cbranch_execz .LBB22_56
; %bb.52:
	s_load_b128 s[4:7], s[0:1], 0x70
	v_mov_b32_e32 v4, 0
	s_brev_b32 s3, 1
	s_mov_b32 s2, 0
	ds_load_b64 v[0:1], v4
	s_waitcnt lgkmcnt(0)
	s_load_b64 s[0:1], s[6:7], 0x0
	global_load_b64 v[2:3], v4, s[4:5] glc
	s_waitcnt lgkmcnt(0)
	v_div_scale_f64 v[5:6], null, s[0:1], s[0:1], v[0:1]
	s_delay_alu instid0(VALU_DEP_1) | instskip(SKIP_2) | instid1(VALU_DEP_1)
	v_rcp_f64_e32 v[7:8], v[5:6]
	s_waitcnt_depctr 0xfff
	v_fma_f64 v[9:10], -v[5:6], v[7:8], 1.0
	v_fma_f64 v[7:8], v[7:8], v[9:10], v[7:8]
	s_delay_alu instid0(VALU_DEP_1) | instskip(NEXT) | instid1(VALU_DEP_1)
	v_fma_f64 v[9:10], -v[5:6], v[7:8], 1.0
	v_fma_f64 v[7:8], v[7:8], v[9:10], v[7:8]
	v_div_scale_f64 v[9:10], vcc_lo, v[0:1], s[0:1], v[0:1]
	s_delay_alu instid0(VALU_DEP_1) | instskip(NEXT) | instid1(VALU_DEP_1)
	v_mul_f64 v[11:12], v[9:10], v[7:8]
	v_fma_f64 v[5:6], -v[5:6], v[11:12], v[9:10]
	s_waitcnt vmcnt(0)
	v_cmp_eq_u64_e64 s6, s[2:3], v[2:3]
                                        ; implicit-def: $sgpr3
	s_delay_alu instid0(VALU_DEP_2) | instskip(NEXT) | instid1(VALU_DEP_1)
	v_div_fmas_f64 v[5:6], v[5:6], v[7:8], v[11:12]
	v_div_fixup_f64 v[0:1], v[5:6], s[0:1], v[0:1]
                                        ; implicit-def: $sgpr1
	s_delay_alu instid0(VALU_DEP_1)
	v_cmp_eq_f64_e32 vcc_lo, 0, v[0:1]
	s_set_inst_prefetch_distance 0x1
	s_branch .LBB22_54
	.p2align	6
.LBB22_53:                              ;   in Loop: Header=BB22_54 Depth=1
	s_or_b32 exec_lo, exec_lo, s7
	s_delay_alu instid0(SALU_CYCLE_1) | instskip(NEXT) | instid1(SALU_CYCLE_1)
	s_and_b32 s0, exec_lo, s1
	s_or_b32 s2, s0, s2
	s_and_not1_b32 s0, s6, exec_lo
	s_and_b32 s6, s3, exec_lo
	s_delay_alu instid0(SALU_CYCLE_1)
	s_or_b32 s6, s0, s6
	s_and_not1_b32 exec_lo, exec_lo, s2
	s_cbranch_execz .LBB22_56
.LBB22_54:                              ; =>This Inner Loop Header: Depth=1
	v_cmp_lt_f64_e64 s0, v[2:3], v[0:1]
	s_and_b32 s7, vcc_lo, s6
	s_and_not1_b32 s3, s3, exec_lo
	s_or_b32 s1, s1, exec_lo
	s_delay_alu instid0(VALU_DEP_1) | instskip(NEXT) | instid1(SALU_CYCLE_1)
	s_or_b32 s0, s0, s7
	s_and_saveexec_b32 s7, s0
	s_cbranch_execz .LBB22_53
; %bb.55:                               ;   in Loop: Header=BB22_54 Depth=1
	global_atomic_cmpswap_b64 v[5:6], v4, v[0:3], s[4:5] glc
	s_and_not1_b32 s3, s3, exec_lo
	s_and_not1_b32 s1, s1, exec_lo
	s_waitcnt vmcnt(0)
	v_cmp_eq_u64_e64 s0, v[5:6], v[2:3]
	s_delay_alu instid0(VALU_DEP_1) | instskip(SKIP_2) | instid1(SALU_CYCLE_1)
	v_cndmask_b32_e64 v3, v6, v3, s0
	v_cndmask_b32_e64 v2, v5, v2, s0
	s_and_b32 s0, s0, exec_lo
	s_or_b32 s1, s1, s0
	s_delay_alu instid0(VALU_DEP_1) | instskip(SKIP_1) | instid1(VALU_DEP_2)
	v_cmp_class_f64_e64 s6, v[2:3], 32
	v_dual_mov_b32 v2, v5 :: v_dual_mov_b32 v3, v6
	s_and_b32 s6, s6, exec_lo
	s_delay_alu instid0(SALU_CYCLE_1)
	s_or_b32 s3, s3, s6
                                        ; implicit-def: $sgpr6
	s_branch .LBB22_53
.LBB22_56:
	s_set_inst_prefetch_distance 0x2
	s_endpgm
	.section	.rodata,"a",@progbits
	.p2align	6, 0x0
	.amdhsa_kernel _ZN9rocsparseL16kernel_calculateILi1024ELi4ELb1EdiiEEvT4_T3_PKS2_S4_PKS1_PKT2_21rocsparse_index_base_S4_S4_S6_S4_S4_S6_S4_PS7_PNS_15floating_traitsIS7_E6data_tEPKSE_
		.amdhsa_group_segment_fixed_size 2048
		.amdhsa_private_segment_fixed_size 0
		.amdhsa_kernarg_size 128
		.amdhsa_user_sgpr_count 15
		.amdhsa_user_sgpr_dispatch_ptr 0
		.amdhsa_user_sgpr_queue_ptr 0
		.amdhsa_user_sgpr_kernarg_segment_ptr 1
		.amdhsa_user_sgpr_dispatch_id 0
		.amdhsa_user_sgpr_private_segment_size 0
		.amdhsa_wavefront_size32 1
		.amdhsa_uses_dynamic_stack 0
		.amdhsa_enable_private_segment 0
		.amdhsa_system_sgpr_workgroup_id_x 1
		.amdhsa_system_sgpr_workgroup_id_y 0
		.amdhsa_system_sgpr_workgroup_id_z 0
		.amdhsa_system_sgpr_workgroup_info 0
		.amdhsa_system_vgpr_workitem_id 0
		.amdhsa_next_free_vgpr 33
		.amdhsa_next_free_sgpr 42
		.amdhsa_reserve_vcc 1
		.amdhsa_float_round_mode_32 0
		.amdhsa_float_round_mode_16_64 0
		.amdhsa_float_denorm_mode_32 3
		.amdhsa_float_denorm_mode_16_64 3
		.amdhsa_dx10_clamp 1
		.amdhsa_ieee_mode 1
		.amdhsa_fp16_overflow 0
		.amdhsa_workgroup_processor_mode 1
		.amdhsa_memory_ordered 1
		.amdhsa_forward_progress 0
		.amdhsa_shared_vgpr_count 0
		.amdhsa_exception_fp_ieee_invalid_op 0
		.amdhsa_exception_fp_denorm_src 0
		.amdhsa_exception_fp_ieee_div_zero 0
		.amdhsa_exception_fp_ieee_overflow 0
		.amdhsa_exception_fp_ieee_underflow 0
		.amdhsa_exception_fp_ieee_inexact 0
		.amdhsa_exception_int_div_zero 0
	.end_amdhsa_kernel
	.section	.text._ZN9rocsparseL16kernel_calculateILi1024ELi4ELb1EdiiEEvT4_T3_PKS2_S4_PKS1_PKT2_21rocsparse_index_base_S4_S4_S6_S4_S4_S6_S4_PS7_PNS_15floating_traitsIS7_E6data_tEPKSE_,"axG",@progbits,_ZN9rocsparseL16kernel_calculateILi1024ELi4ELb1EdiiEEvT4_T3_PKS2_S4_PKS1_PKT2_21rocsparse_index_base_S4_S4_S6_S4_S4_S6_S4_PS7_PNS_15floating_traitsIS7_E6data_tEPKSE_,comdat
.Lfunc_end22:
	.size	_ZN9rocsparseL16kernel_calculateILi1024ELi4ELb1EdiiEEvT4_T3_PKS2_S4_PKS1_PKT2_21rocsparse_index_base_S4_S4_S6_S4_S4_S6_S4_PS7_PNS_15floating_traitsIS7_E6data_tEPKSE_, .Lfunc_end22-_ZN9rocsparseL16kernel_calculateILi1024ELi4ELb1EdiiEEvT4_T3_PKS2_S4_PKS1_PKT2_21rocsparse_index_base_S4_S4_S6_S4_S4_S6_S4_PS7_PNS_15floating_traitsIS7_E6data_tEPKSE_
                                        ; -- End function
	.section	.AMDGPU.csdata,"",@progbits
; Kernel info:
; codeLenInByte = 2912
; NumSgprs: 44
; NumVgprs: 33
; ScratchSize: 0
; MemoryBound: 1
; FloatMode: 240
; IeeeMode: 1
; LDSByteSize: 2048 bytes/workgroup (compile time only)
; SGPRBlocks: 5
; VGPRBlocks: 4
; NumSGPRsForWavesPerEU: 44
; NumVGPRsForWavesPerEU: 33
; Occupancy: 16
; WaveLimiterHint : 1
; COMPUTE_PGM_RSRC2:SCRATCH_EN: 0
; COMPUTE_PGM_RSRC2:USER_SGPR: 15
; COMPUTE_PGM_RSRC2:TRAP_HANDLER: 0
; COMPUTE_PGM_RSRC2:TGID_X_EN: 1
; COMPUTE_PGM_RSRC2:TGID_Y_EN: 0
; COMPUTE_PGM_RSRC2:TGID_Z_EN: 0
; COMPUTE_PGM_RSRC2:TIDIG_COMP_CNT: 0
	.section	.text._ZN9rocsparseL16kernel_calculateILi1024ELi8ELb1EdiiEEvT4_T3_PKS2_S4_PKS1_PKT2_21rocsparse_index_base_S4_S4_S6_S4_S4_S6_S4_PS7_PNS_15floating_traitsIS7_E6data_tEPKSE_,"axG",@progbits,_ZN9rocsparseL16kernel_calculateILi1024ELi8ELb1EdiiEEvT4_T3_PKS2_S4_PKS1_PKT2_21rocsparse_index_base_S4_S4_S6_S4_S4_S6_S4_PS7_PNS_15floating_traitsIS7_E6data_tEPKSE_,comdat
	.globl	_ZN9rocsparseL16kernel_calculateILi1024ELi8ELb1EdiiEEvT4_T3_PKS2_S4_PKS1_PKT2_21rocsparse_index_base_S4_S4_S6_S4_S4_S6_S4_PS7_PNS_15floating_traitsIS7_E6data_tEPKSE_ ; -- Begin function _ZN9rocsparseL16kernel_calculateILi1024ELi8ELb1EdiiEEvT4_T3_PKS2_S4_PKS1_PKT2_21rocsparse_index_base_S4_S4_S6_S4_S4_S6_S4_PS7_PNS_15floating_traitsIS7_E6data_tEPKSE_
	.p2align	8
	.type	_ZN9rocsparseL16kernel_calculateILi1024ELi8ELb1EdiiEEvT4_T3_PKS2_S4_PKS1_PKT2_21rocsparse_index_base_S4_S4_S6_S4_S4_S6_S4_PS7_PNS_15floating_traitsIS7_E6data_tEPKSE_,@function
_ZN9rocsparseL16kernel_calculateILi1024ELi8ELb1EdiiEEvT4_T3_PKS2_S4_PKS1_PKT2_21rocsparse_index_base_S4_S4_S6_S4_S4_S6_S4_PS7_PNS_15floating_traitsIS7_E6data_tEPKSE_: ; @_ZN9rocsparseL16kernel_calculateILi1024ELi8ELb1EdiiEEvT4_T3_PKS2_S4_PKS1_PKT2_21rocsparse_index_base_S4_S4_S6_S4_S4_S6_S4_PS7_PNS_15floating_traitsIS7_E6data_tEPKSE_
; %bb.0:
	s_load_b32 s5, s[0:1], 0x0
	v_lshrrev_b32_e32 v25, 3, v0
	v_dual_mov_b32 v1, 0 :: v_dual_and_b32 v26, 7, v0
	v_mov_b32_e32 v2, 0
	s_mov_b32 s6, exec_lo
	s_delay_alu instid0(VALU_DEP_3) | instskip(SKIP_1) | instid1(VALU_DEP_1)
	v_lshl_or_b32 v27, s15, 10, v25
	s_waitcnt lgkmcnt(0)
	v_cmpx_gt_i32_e64 s5, v27
	s_cbranch_execz .LBB23_33
; %bb.1:
	s_clause 0x3
	s_load_b32 s7, s[0:1], 0x28
	s_load_b256 s[8:15], s[0:1], 0x50
	s_load_b256 s[16:23], s[0:1], 0x30
	;; [unrolled: 1-line block ×3, first 2 shown]
	v_mov_b32_e32 v1, 0
	v_mov_b32_e32 v2, 0
	s_mov_b32 s33, 0
	s_waitcnt lgkmcnt(0)
	v_subrev_nc_u32_e32 v28, s7, v26
	s_branch .LBB23_5
.LBB23_2:                               ;   in Loop: Header=BB23_5 Depth=1
	s_or_b32 exec_lo, exec_lo, s36
.LBB23_3:                               ;   in Loop: Header=BB23_5 Depth=1
	s_delay_alu instid0(SALU_CYCLE_1)
	s_or_b32 exec_lo, exec_lo, s35
.LBB23_4:                               ;   in Loop: Header=BB23_5 Depth=1
	s_delay_alu instid0(SALU_CYCLE_1) | instskip(SKIP_1) | instid1(SALU_CYCLE_1)
	s_or_b32 exec_lo, exec_lo, s34
	s_add_i32 s33, s33, 1
	s_cmp_lg_u32 s33, 8
	s_cbranch_scc0 .LBB23_33
.LBB23_5:                               ; =>This Loop Header: Depth=1
                                        ;     Child Loop BB23_9 Depth 2
                                        ;       Child Loop BB23_12 Depth 3
                                        ;       Child Loop BB23_18 Depth 3
	;; [unrolled: 1-line block ×3, first 2 shown]
	v_lshl_add_u32 v3, s33, 7, v27
	s_mov_b32 s34, exec_lo
	s_delay_alu instid0(VALU_DEP_1)
	v_cmpx_gt_i32_e64 s5, v3
	s_cbranch_execz .LBB23_4
; %bb.6:                                ;   in Loop: Header=BB23_5 Depth=1
	v_ashrrev_i32_e32 v4, 31, v3
	s_mov_b32 s35, exec_lo
	s_delay_alu instid0(VALU_DEP_1) | instskip(NEXT) | instid1(VALU_DEP_1)
	v_lshlrev_b64 v[5:6], 2, v[3:4]
	v_add_co_u32 v7, vcc_lo, s26, v5
	s_delay_alu instid0(VALU_DEP_2)
	v_add_co_ci_u32_e32 v8, vcc_lo, s27, v6, vcc_lo
	v_add_co_u32 v9, vcc_lo, s24, v5
	v_add_co_ci_u32_e32 v10, vcc_lo, s25, v6, vcc_lo
	global_load_b32 v4, v[7:8], off
	global_load_b32 v7, v[9:10], off
	s_waitcnt vmcnt(1)
	v_subrev_nc_u32_e32 v29, s7, v4
	s_waitcnt vmcnt(0)
	v_add_nc_u32_e32 v4, v28, v7
	s_delay_alu instid0(VALU_DEP_1)
	v_cmpx_lt_i32_e64 v4, v29
	s_cbranch_execz .LBB23_3
; %bb.7:                                ;   in Loop: Header=BB23_5 Depth=1
	v_add_co_u32 v7, vcc_lo, s18, v5
	v_add_co_ci_u32_e32 v8, vcc_lo, s19, v6, vcc_lo
	v_add_co_u32 v5, vcc_lo, s16, v5
	v_add_co_ci_u32_e32 v6, vcc_lo, s17, v6, vcc_lo
	s_mov_b32 s36, 0
	global_load_b32 v7, v[7:8], off
	global_load_b32 v5, v[5:6], off
	s_waitcnt vmcnt(1)
	v_subrev_nc_u32_e32 v30, s7, v7
	s_waitcnt vmcnt(0)
	v_subrev_nc_u32_e32 v31, s7, v5
	v_cmp_lt_i32_e64 s2, v5, v7
	s_branch .LBB23_9
.LBB23_8:                               ;   in Loop: Header=BB23_9 Depth=2
	s_or_b32 exec_lo, exec_lo, s3
	v_add_f64 v[7:8], v[9:10], v[17:18]
	v_cmp_eq_u32_e32 vcc_lo, v3, v6
	v_add_nc_u32_e32 v4, 8, v4
	s_delay_alu instid0(VALU_DEP_1) | instskip(NEXT) | instid1(VALU_DEP_4)
	v_cmp_ge_i32_e64 s4, v4, v29
	v_dual_cndmask_b32 v6, v18, v8 :: v_dual_cndmask_b32 v5, v17, v7
	s_delay_alu instid0(VALU_DEP_1) | instskip(NEXT) | instid1(VALU_DEP_1)
	v_and_b32_e32 v6, 0x7fffffff, v6
	v_cmp_nlg_f64_e32 vcc_lo, 0x7ff00000, v[5:6]
	v_cmp_gt_f64_e64 s3, v[1:2], v[5:6]
	s_delay_alu instid0(VALU_DEP_1)
	s_or_b32 vcc_lo, vcc_lo, s3
	s_or_b32 s36, s4, s36
	v_dual_cndmask_b32 v1, v5, v1 :: v_dual_cndmask_b32 v2, v6, v2
	s_and_not1_b32 exec_lo, exec_lo, s36
	s_cbranch_execz .LBB23_2
.LBB23_9:                               ;   Parent Loop BB23_5 Depth=1
                                        ; =>  This Loop Header: Depth=2
                                        ;       Child Loop BB23_12 Depth 3
                                        ;       Child Loop BB23_18 Depth 3
	;; [unrolled: 1-line block ×3, first 2 shown]
	v_ashrrev_i32_e32 v5, 31, v4
	s_delay_alu instid0(VALU_DEP_1) | instskip(NEXT) | instid1(VALU_DEP_1)
	v_lshlrev_b64 v[6:7], 2, v[4:5]
	v_add_co_u32 v6, vcc_lo, s28, v6
	s_delay_alu instid0(VALU_DEP_2) | instskip(SKIP_3) | instid1(VALU_DEP_1)
	v_add_co_ci_u32_e32 v7, vcc_lo, s29, v7, vcc_lo
	global_load_b32 v32, v[6:7], off
	s_waitcnt vmcnt(0)
	v_subrev_nc_u32_e32 v6, s7, v32
	v_ashrrev_i32_e32 v7, 31, v6
	s_delay_alu instid0(VALU_DEP_1) | instskip(NEXT) | instid1(VALU_DEP_1)
	v_lshlrev_b64 v[9:10], 2, v[6:7]
	v_add_co_u32 v7, vcc_lo, s18, v9
	s_delay_alu instid0(VALU_DEP_2)
	v_add_co_ci_u32_e32 v8, vcc_lo, s19, v10, vcc_lo
	v_add_co_u32 v13, vcc_lo, s8, v9
	v_add_co_ci_u32_e32 v14, vcc_lo, s9, v10, vcc_lo
	global_load_b32 v11, v[7:8], off
	v_lshlrev_b64 v[7:8], 3, v[4:5]
	v_add_co_u32 v9, vcc_lo, s22, v9
	v_add_co_ci_u32_e32 v10, vcc_lo, s23, v10, vcc_lo
	global_load_b32 v13, v[13:14], off
	global_load_b32 v14, v[9:10], off
	v_add_co_u32 v15, vcc_lo, s30, v7
	v_add_co_ci_u32_e32 v16, vcc_lo, s31, v8, vcc_lo
	s_waitcnt vmcnt(2)
	v_subrev_nc_u32_e32 v11, s7, v11
	s_delay_alu instid0(VALU_DEP_1)
	v_ashrrev_i32_e32 v12, 31, v11
	s_waitcnt vmcnt(1)
	v_subrev_nc_u32_e32 v5, s7, v13
	s_waitcnt vmcnt(0)
	v_subrev_nc_u32_e32 v19, s7, v14
	v_lshlrev_b64 v[11:12], 3, v[11:12]
	s_delay_alu instid0(VALU_DEP_1) | instskip(NEXT) | instid1(VALU_DEP_2)
	v_add_co_u32 v9, vcc_lo, s14, v11
	v_add_co_ci_u32_e32 v10, vcc_lo, s15, v12, vcc_lo
	v_cmp_lt_i32_e32 vcc_lo, v14, v13
	global_load_b64 v[11:12], v[15:16], off
	global_load_b64 v[9:10], v[9:10], off
	v_mov_b32_e32 v13, 0
	v_dual_mov_b32 v14, 0 :: v_dual_mov_b32 v15, v31
	s_and_b32 s3, s2, vcc_lo
	s_delay_alu instid0(SALU_CYCLE_1)
	s_and_saveexec_b32 s4, s3
	s_cbranch_execz .LBB23_15
; %bb.10:                               ;   in Loop: Header=BB23_9 Depth=2
	v_mov_b32_e32 v13, 0
	v_dual_mov_b32 v14, 0 :: v_dual_mov_b32 v15, v31
	s_mov_b32 s37, 0
	s_branch .LBB23_12
.LBB23_11:                              ;   in Loop: Header=BB23_12 Depth=3
	s_or_b32 exec_lo, exec_lo, s3
	v_cmp_le_i32_e32 vcc_lo, v20, v21
	v_add_co_ci_u32_e32 v15, vcc_lo, 0, v15, vcc_lo
	v_cmp_ge_i32_e32 vcc_lo, v20, v21
	v_add_co_ci_u32_e32 v19, vcc_lo, 0, v19, vcc_lo
	s_delay_alu instid0(VALU_DEP_3) | instskip(NEXT) | instid1(VALU_DEP_2)
	v_cmp_ge_i32_e32 vcc_lo, v15, v30
	v_cmp_ge_i32_e64 s3, v19, v5
	s_delay_alu instid0(VALU_DEP_1) | instskip(NEXT) | instid1(SALU_CYCLE_1)
	s_or_b32 s3, vcc_lo, s3
	s_and_b32 s3, exec_lo, s3
	s_delay_alu instid0(SALU_CYCLE_1) | instskip(NEXT) | instid1(SALU_CYCLE_1)
	s_or_b32 s37, s3, s37
	s_and_not1_b32 exec_lo, exec_lo, s37
	s_cbranch_execz .LBB23_14
.LBB23_12:                              ;   Parent Loop BB23_5 Depth=1
                                        ;     Parent Loop BB23_9 Depth=2
                                        ; =>    This Inner Loop Header: Depth=3
	s_delay_alu instid0(VALU_DEP_1) | instskip(SKIP_2) | instid1(VALU_DEP_2)
	v_ashrrev_i32_e32 v16, 31, v15
	v_ashrrev_i32_e32 v20, 31, v19
	s_mov_b32 s3, exec_lo
	v_lshlrev_b64 v[21:22], 2, v[15:16]
	s_delay_alu instid0(VALU_DEP_2) | instskip(NEXT) | instid1(VALU_DEP_2)
	v_lshlrev_b64 v[17:18], 2, v[19:20]
	v_add_co_u32 v20, vcc_lo, s20, v21
	s_delay_alu instid0(VALU_DEP_3) | instskip(NEXT) | instid1(VALU_DEP_3)
	v_add_co_ci_u32_e32 v21, vcc_lo, s21, v22, vcc_lo
	v_add_co_u32 v22, vcc_lo, s10, v17
	s_delay_alu instid0(VALU_DEP_4)
	v_add_co_ci_u32_e32 v23, vcc_lo, s11, v18, vcc_lo
	global_load_b32 v20, v[20:21], off
	global_load_b32 v21, v[22:23], off
	s_waitcnt vmcnt(0)
	v_cmpx_eq_u32_e64 v20, v21
	s_cbranch_execz .LBB23_11
; %bb.13:                               ;   in Loop: Header=BB23_12 Depth=3
	v_add_co_u32 v17, vcc_lo, s12, v17
	v_add_co_ci_u32_e32 v18, vcc_lo, s13, v18, vcc_lo
	v_lshlrev_b64 v[22:23], 3, v[15:16]
	global_load_b32 v17, v[17:18], off
	v_add_co_u32 v22, vcc_lo, s14, v22
	v_add_co_ci_u32_e32 v23, vcc_lo, s15, v23, vcc_lo
	s_waitcnt vmcnt(0)
	v_ashrrev_i32_e32 v18, 31, v17
	s_delay_alu instid0(VALU_DEP_1) | instskip(NEXT) | instid1(VALU_DEP_1)
	v_lshlrev_b64 v[16:17], 3, v[17:18]
	v_add_co_u32 v16, vcc_lo, s14, v16
	s_delay_alu instid0(VALU_DEP_2)
	v_add_co_ci_u32_e32 v17, vcc_lo, s15, v17, vcc_lo
	s_clause 0x1
	global_load_b64 v[22:23], v[22:23], off
	global_load_b64 v[16:17], v[16:17], off
	s_waitcnt vmcnt(0)
	v_fma_f64 v[13:14], v[22:23], v[16:17], v[13:14]
	s_branch .LBB23_11
.LBB23_14:                              ;   in Loop: Header=BB23_9 Depth=2
	s_or_b32 exec_lo, exec_lo, s37
.LBB23_15:                              ;   in Loop: Header=BB23_9 Depth=2
	s_delay_alu instid0(SALU_CYCLE_1)
	s_or_b32 exec_lo, exec_lo, s4
	s_waitcnt vmcnt(1)
	v_add_f64 v[17:18], v[13:14], -v[11:12]
	s_mov_b32 s4, exec_lo
	v_cmpx_lt_i32_e64 v19, v5
	s_cbranch_execz .LBB23_23
; %bb.16:                               ;   in Loop: Header=BB23_9 Depth=2
	v_ashrrev_i32_e32 v20, 31, v19
	s_mov_b32 s37, 0
                                        ; implicit-def: $sgpr38
                                        ; implicit-def: $sgpr40
                                        ; implicit-def: $sgpr39
	s_delay_alu instid0(VALU_DEP_1) | instskip(NEXT) | instid1(VALU_DEP_1)
	v_lshlrev_b64 v[21:22], 2, v[19:20]
	v_add_co_u32 v21, vcc_lo, s10, v21
	s_delay_alu instid0(VALU_DEP_2)
	v_add_co_ci_u32_e32 v22, vcc_lo, s11, v22, vcc_lo
	s_set_inst_prefetch_distance 0x1
	s_branch .LBB23_18
	.p2align	6
.LBB23_17:                              ;   in Loop: Header=BB23_18 Depth=3
	s_or_b32 exec_lo, exec_lo, s41
	s_delay_alu instid0(SALU_CYCLE_1) | instskip(NEXT) | instid1(SALU_CYCLE_1)
	s_and_b32 s3, exec_lo, s40
	s_or_b32 s37, s3, s37
	s_and_not1_b32 s3, s38, exec_lo
	s_and_b32 s38, s39, exec_lo
	s_delay_alu instid0(SALU_CYCLE_1)
	s_or_b32 s38, s3, s38
	s_and_not1_b32 exec_lo, exec_lo, s37
	s_cbranch_execz .LBB23_20
.LBB23_18:                              ;   Parent Loop BB23_5 Depth=1
                                        ;     Parent Loop BB23_9 Depth=2
                                        ; =>    This Inner Loop Header: Depth=3
	global_load_b32 v16, v[21:22], off
	v_dual_mov_b32 v24, v20 :: v_dual_mov_b32 v23, v19
	s_or_b32 s39, s39, exec_lo
	s_or_b32 s40, s40, exec_lo
	s_mov_b32 s41, exec_lo
                                        ; implicit-def: $vgpr19_vgpr20
	s_waitcnt vmcnt(0)
	v_subrev_nc_u32_e32 v16, s7, v16
	s_delay_alu instid0(VALU_DEP_1)
	v_cmpx_ne_u32_e64 v16, v3
	s_cbranch_execz .LBB23_17
; %bb.19:                               ;   in Loop: Header=BB23_18 Depth=3
	v_add_co_u32 v19, vcc_lo, v23, 1
	v_add_co_ci_u32_e32 v20, vcc_lo, 0, v24, vcc_lo
	v_add_co_u32 v21, s3, v21, 4
	s_delay_alu instid0(VALU_DEP_3) | instskip(SKIP_4) | instid1(SALU_CYCLE_1)
	v_cmp_ge_i32_e32 vcc_lo, v19, v5
	v_add_co_ci_u32_e64 v22, s3, 0, v22, s3
	s_and_not1_b32 s3, s40, exec_lo
	s_and_not1_b32 s39, s39, exec_lo
	s_and_b32 s40, vcc_lo, exec_lo
	s_or_b32 s40, s3, s40
	s_branch .LBB23_17
.LBB23_20:                              ;   in Loop: Header=BB23_9 Depth=2
	s_set_inst_prefetch_distance 0x2
	s_or_b32 exec_lo, exec_lo, s37
	s_and_saveexec_b32 s3, s38
	s_delay_alu instid0(SALU_CYCLE_1)
	s_xor_b32 s3, exec_lo, s3
	s_cbranch_execz .LBB23_22
; %bb.21:                               ;   in Loop: Header=BB23_9 Depth=2
	v_lshlrev_b64 v[19:20], 2, v[23:24]
	s_delay_alu instid0(VALU_DEP_1) | instskip(NEXT) | instid1(VALU_DEP_2)
	v_add_co_u32 v19, vcc_lo, s12, v19
	v_add_co_ci_u32_e32 v20, vcc_lo, s13, v20, vcc_lo
	global_load_b32 v19, v[19:20], off
	s_waitcnt vmcnt(0)
	v_ashrrev_i32_e32 v20, 31, v19
	s_delay_alu instid0(VALU_DEP_1) | instskip(NEXT) | instid1(VALU_DEP_1)
	v_lshlrev_b64 v[19:20], 3, v[19:20]
	v_add_co_u32 v19, vcc_lo, s14, v19
	s_delay_alu instid0(VALU_DEP_2)
	v_add_co_ci_u32_e32 v20, vcc_lo, s15, v20, vcc_lo
	global_load_b64 v[19:20], v[19:20], off
	s_waitcnt vmcnt(0)
	v_add_f64 v[17:18], v[17:18], v[19:20]
.LBB23_22:                              ;   in Loop: Header=BB23_9 Depth=2
	s_or_b32 exec_lo, exec_lo, s3
.LBB23_23:                              ;   in Loop: Header=BB23_9 Depth=2
	s_delay_alu instid0(SALU_CYCLE_1) | instskip(NEXT) | instid1(SALU_CYCLE_1)
	s_or_b32 exec_lo, exec_lo, s4
	s_mov_b32 s4, exec_lo
	v_cmpx_lt_i32_e64 v15, v30
	s_cbranch_execz .LBB23_31
; %bb.24:                               ;   in Loop: Header=BB23_9 Depth=2
	v_ashrrev_i32_e32 v16, 31, v15
	s_mov_b32 s37, 0
                                        ; implicit-def: $sgpr38
                                        ; implicit-def: $sgpr40
                                        ; implicit-def: $sgpr39
	s_delay_alu instid0(VALU_DEP_1) | instskip(NEXT) | instid1(VALU_DEP_1)
	v_lshlrev_b64 v[19:20], 2, v[15:16]
	v_add_co_u32 v19, vcc_lo, s20, v19
	s_delay_alu instid0(VALU_DEP_2)
	v_add_co_ci_u32_e32 v20, vcc_lo, s21, v20, vcc_lo
	s_set_inst_prefetch_distance 0x1
	s_branch .LBB23_26
	.p2align	6
.LBB23_25:                              ;   in Loop: Header=BB23_26 Depth=3
	s_or_b32 exec_lo, exec_lo, s41
	s_delay_alu instid0(SALU_CYCLE_1) | instskip(NEXT) | instid1(SALU_CYCLE_1)
	s_and_b32 s3, exec_lo, s40
	s_or_b32 s37, s3, s37
	s_and_not1_b32 s3, s38, exec_lo
	s_and_b32 s38, s39, exec_lo
	s_delay_alu instid0(SALU_CYCLE_1)
	s_or_b32 s38, s3, s38
	s_and_not1_b32 exec_lo, exec_lo, s37
	s_cbranch_execz .LBB23_28
.LBB23_26:                              ;   Parent Loop BB23_5 Depth=1
                                        ;     Parent Loop BB23_9 Depth=2
                                        ; =>    This Inner Loop Header: Depth=3
	global_load_b32 v5, v[19:20], off
	v_dual_mov_b32 v22, v16 :: v_dual_mov_b32 v21, v15
	s_or_b32 s39, s39, exec_lo
	s_or_b32 s40, s40, exec_lo
	s_mov_b32 s41, exec_lo
                                        ; implicit-def: $vgpr15_vgpr16
	s_waitcnt vmcnt(0)
	v_cmpx_ne_u32_e64 v5, v32
	s_cbranch_execz .LBB23_25
; %bb.27:                               ;   in Loop: Header=BB23_26 Depth=3
	v_add_co_u32 v15, vcc_lo, v21, 1
	v_add_co_ci_u32_e32 v16, vcc_lo, 0, v22, vcc_lo
	v_add_co_u32 v19, s3, v19, 4
	s_delay_alu instid0(VALU_DEP_3) | instskip(SKIP_4) | instid1(SALU_CYCLE_1)
	v_cmp_ge_i32_e32 vcc_lo, v15, v30
	v_add_co_ci_u32_e64 v20, s3, 0, v20, s3
	s_and_not1_b32 s3, s40, exec_lo
	s_and_not1_b32 s39, s39, exec_lo
	s_and_b32 s40, vcc_lo, exec_lo
	s_or_b32 s40, s3, s40
	s_branch .LBB23_25
.LBB23_28:                              ;   in Loop: Header=BB23_9 Depth=2
	s_set_inst_prefetch_distance 0x2
	s_or_b32 exec_lo, exec_lo, s37
	s_and_saveexec_b32 s3, s38
	s_delay_alu instid0(SALU_CYCLE_1)
	s_xor_b32 s3, exec_lo, s3
	s_cbranch_execz .LBB23_30
; %bb.29:                               ;   in Loop: Header=BB23_9 Depth=2
	v_lshlrev_b64 v[15:16], 3, v[21:22]
	s_delay_alu instid0(VALU_DEP_1) | instskip(NEXT) | instid1(VALU_DEP_2)
	v_add_co_u32 v15, vcc_lo, s14, v15
	v_add_co_ci_u32_e32 v16, vcc_lo, s15, v16, vcc_lo
	global_load_b64 v[15:16], v[15:16], off
	s_waitcnt vmcnt(0)
	v_fma_f64 v[17:18], v[15:16], v[9:10], v[17:18]
.LBB23_30:                              ;   in Loop: Header=BB23_9 Depth=2
	s_or_b32 exec_lo, exec_lo, s3
.LBB23_31:                              ;   in Loop: Header=BB23_9 Depth=2
	s_delay_alu instid0(SALU_CYCLE_1) | instskip(SKIP_2) | instid1(VALU_DEP_1)
	s_or_b32 exec_lo, exec_lo, s4
	v_add_f64 v[11:12], v[11:12], -v[13:14]
	s_waitcnt vmcnt(0)
	v_div_scale_f64 v[13:14], null, v[9:10], v[9:10], v[11:12]
	v_div_scale_f64 v[21:22], vcc_lo, v[11:12], v[9:10], v[11:12]
	s_delay_alu instid0(VALU_DEP_2) | instskip(SKIP_2) | instid1(VALU_DEP_1)
	v_rcp_f64_e32 v[15:16], v[13:14]
	s_waitcnt_depctr 0xfff
	v_fma_f64 v[19:20], -v[13:14], v[15:16], 1.0
	v_fma_f64 v[15:16], v[15:16], v[19:20], v[15:16]
	s_delay_alu instid0(VALU_DEP_1) | instskip(NEXT) | instid1(VALU_DEP_1)
	v_fma_f64 v[19:20], -v[13:14], v[15:16], 1.0
	v_fma_f64 v[15:16], v[15:16], v[19:20], v[15:16]
	s_delay_alu instid0(VALU_DEP_1) | instskip(NEXT) | instid1(VALU_DEP_1)
	v_mul_f64 v[19:20], v[21:22], v[15:16]
	v_fma_f64 v[13:14], -v[13:14], v[19:20], v[21:22]
	s_delay_alu instid0(VALU_DEP_1) | instskip(SKIP_1) | instid1(VALU_DEP_2)
	v_div_fmas_f64 v[13:14], v[13:14], v[15:16], v[19:20]
	v_cmp_gt_i32_e32 vcc_lo, v3, v6
	v_div_fixup_f64 v[13:14], v[13:14], v[9:10], v[11:12]
	s_delay_alu instid0(VALU_DEP_1) | instskip(NEXT) | instid1(VALU_DEP_1)
	v_dual_cndmask_b32 v12, v12, v14 :: v_dual_cndmask_b32 v11, v11, v13
	v_cmp_class_f64_e64 s4, v[11:12], 0x1f8
	s_delay_alu instid0(VALU_DEP_1)
	s_and_saveexec_b32 s3, s4
	s_cbranch_execz .LBB23_8
; %bb.32:                               ;   in Loop: Header=BB23_9 Depth=2
	v_add_co_u32 v7, vcc_lo, s14, v7
	v_add_co_ci_u32_e32 v8, vcc_lo, s15, v8, vcc_lo
	global_store_b64 v[7:8], v[11:12], off
	s_branch .LBB23_8
.LBB23_33:
	s_or_b32 exec_lo, exec_lo, s6
	v_mbcnt_lo_u32_b32 v5, -1, 0
	s_delay_alu instid0(VALU_DEP_1) | instskip(SKIP_1) | instid1(VALU_DEP_2)
	v_xor_b32_e32 v3, 4, v5
	v_xor_b32_e32 v6, 2, v5
	v_cmp_gt_i32_e32 vcc_lo, 32, v3
	s_delay_alu instid0(VALU_DEP_2) | instskip(NEXT) | instid1(VALU_DEP_1)
	v_cmp_gt_i32_e64 s2, 32, v6
	v_cndmask_b32_e64 v6, v5, v6, s2
	s_delay_alu instid0(VALU_DEP_1) | instskip(NEXT) | instid1(VALU_DEP_1)
	v_dual_cndmask_b32 v3, v5, v3 :: v_dual_lshlrev_b32 v6, 2, v6
	v_lshlrev_b32_e32 v4, 2, v3
	ds_bpermute_b32 v3, v4, v1
	ds_bpermute_b32 v4, v4, v2
	s_waitcnt lgkmcnt(0)
	v_cmp_lt_f64_e32 vcc_lo, v[1:2], v[3:4]
	v_dual_cndmask_b32 v2, v2, v4 :: v_dual_cndmask_b32 v1, v1, v3
	ds_bpermute_b32 v4, v6, v2
	ds_bpermute_b32 v3, v6, v1
	v_xor_b32_e32 v6, 1, v5
	s_delay_alu instid0(VALU_DEP_1) | instskip(NEXT) | instid1(VALU_DEP_1)
	v_cmp_gt_i32_e64 s2, 32, v6
	v_cndmask_b32_e64 v5, v5, v6, s2
	s_mov_b32 s2, exec_lo
	s_waitcnt lgkmcnt(0)
	v_cmp_lt_f64_e32 vcc_lo, v[1:2], v[3:4]
	s_delay_alu instid0(VALU_DEP_2)
	v_dual_cndmask_b32 v2, v2, v4 :: v_dual_lshlrev_b32 v5, 2, v5
	v_cndmask_b32_e32 v1, v1, v3, vcc_lo
	ds_bpermute_b32 v4, v5, v2
	ds_bpermute_b32 v3, v5, v1
	v_cmpx_eq_u32_e32 7, v26
	s_cbranch_execz .LBB23_35
; %bb.34:
	s_waitcnt lgkmcnt(0)
	v_cmp_lt_f64_e32 vcc_lo, v[1:2], v[3:4]
	v_dual_cndmask_b32 v2, v2, v4 :: v_dual_lshlrev_b32 v5, 3, v25
	v_cndmask_b32_e32 v1, v1, v3, vcc_lo
	ds_store_b64 v5, v[1:2]
.LBB23_35:
	s_or_b32 exec_lo, exec_lo, s2
	v_lshlrev_b32_e32 v1, 3, v0
	s_mov_b32 s2, exec_lo
	s_waitcnt lgkmcnt(0)
	s_waitcnt_vscnt null, 0x0
	s_barrier
	buffer_gl0_inv
	v_cmpx_gt_u32_e32 64, v0
	s_cbranch_execz .LBB23_37
; %bb.36:
	ds_load_2addr_stride64_b64 v[2:5], v1 offset1:1
	s_waitcnt lgkmcnt(0)
	v_cmp_lt_f64_e32 vcc_lo, v[2:3], v[4:5]
	v_dual_cndmask_b32 v3, v3, v5 :: v_dual_cndmask_b32 v2, v2, v4
	ds_store_b64 v1, v[2:3]
.LBB23_37:
	s_or_b32 exec_lo, exec_lo, s2
	s_delay_alu instid0(SALU_CYCLE_1)
	s_mov_b32 s2, exec_lo
	s_waitcnt lgkmcnt(0)
	s_barrier
	buffer_gl0_inv
	v_cmpx_gt_u32_e32 32, v0
	s_cbranch_execz .LBB23_39
; %bb.38:
	ds_load_2addr_b64 v[2:5], v1 offset1:32
	s_waitcnt lgkmcnt(0)
	v_cmp_lt_f64_e32 vcc_lo, v[2:3], v[4:5]
	v_dual_cndmask_b32 v3, v3, v5 :: v_dual_cndmask_b32 v2, v2, v4
	ds_store_b64 v1, v[2:3]
.LBB23_39:
	s_or_b32 exec_lo, exec_lo, s2
	s_delay_alu instid0(SALU_CYCLE_1)
	s_mov_b32 s2, exec_lo
	s_waitcnt lgkmcnt(0)
	s_barrier
	buffer_gl0_inv
	v_cmpx_gt_u32_e32 16, v0
	s_cbranch_execz .LBB23_41
; %bb.40:
	ds_load_2addr_b64 v[2:5], v1 offset1:16
	s_waitcnt lgkmcnt(0)
	v_cmp_lt_f64_e32 vcc_lo, v[2:3], v[4:5]
	v_dual_cndmask_b32 v3, v3, v5 :: v_dual_cndmask_b32 v2, v2, v4
	ds_store_b64 v1, v[2:3]
.LBB23_41:
	;; [unrolled: 15-line block ×5, first 2 shown]
	s_or_b32 exec_lo, exec_lo, s2
	v_cmp_eq_u32_e32 vcc_lo, 0, v0
	s_waitcnt lgkmcnt(0)
	s_barrier
	buffer_gl0_inv
	s_and_saveexec_b32 s3, vcc_lo
	s_cbranch_execz .LBB23_49
; %bb.48:
	v_mov_b32_e32 v4, 0
	ds_load_b128 v[0:3], v4
	s_waitcnt lgkmcnt(0)
	v_cmp_lt_f64_e64 s2, v[0:1], v[2:3]
	s_delay_alu instid0(VALU_DEP_1)
	v_cndmask_b32_e64 v1, v1, v3, s2
	v_cndmask_b32_e64 v0, v0, v2, s2
	ds_store_b64 v4, v[0:1]
.LBB23_49:
	s_or_b32 exec_lo, exec_lo, s3
	s_waitcnt lgkmcnt(0)
	s_barrier
	buffer_gl0_inv
	s_and_saveexec_b32 s2, vcc_lo
	s_cbranch_execz .LBB23_54
; %bb.50:
	s_load_b128 s[4:7], s[0:1], 0x70
	v_mov_b32_e32 v4, 0
	s_brev_b32 s3, 1
	s_mov_b32 s2, 0
	ds_load_b64 v[0:1], v4
	s_waitcnt lgkmcnt(0)
	s_load_b64 s[0:1], s[6:7], 0x0
	global_load_b64 v[2:3], v4, s[4:5] glc
	s_waitcnt lgkmcnt(0)
	v_div_scale_f64 v[5:6], null, s[0:1], s[0:1], v[0:1]
	s_delay_alu instid0(VALU_DEP_1) | instskip(SKIP_2) | instid1(VALU_DEP_1)
	v_rcp_f64_e32 v[7:8], v[5:6]
	s_waitcnt_depctr 0xfff
	v_fma_f64 v[9:10], -v[5:6], v[7:8], 1.0
	v_fma_f64 v[7:8], v[7:8], v[9:10], v[7:8]
	s_delay_alu instid0(VALU_DEP_1) | instskip(NEXT) | instid1(VALU_DEP_1)
	v_fma_f64 v[9:10], -v[5:6], v[7:8], 1.0
	v_fma_f64 v[7:8], v[7:8], v[9:10], v[7:8]
	v_div_scale_f64 v[9:10], vcc_lo, v[0:1], s[0:1], v[0:1]
	s_delay_alu instid0(VALU_DEP_1) | instskip(NEXT) | instid1(VALU_DEP_1)
	v_mul_f64 v[11:12], v[9:10], v[7:8]
	v_fma_f64 v[5:6], -v[5:6], v[11:12], v[9:10]
	s_waitcnt vmcnt(0)
	v_cmp_eq_u64_e64 s6, s[2:3], v[2:3]
                                        ; implicit-def: $sgpr3
	s_delay_alu instid0(VALU_DEP_2) | instskip(NEXT) | instid1(VALU_DEP_1)
	v_div_fmas_f64 v[5:6], v[5:6], v[7:8], v[11:12]
	v_div_fixup_f64 v[0:1], v[5:6], s[0:1], v[0:1]
                                        ; implicit-def: $sgpr1
	s_delay_alu instid0(VALU_DEP_1)
	v_cmp_eq_f64_e32 vcc_lo, 0, v[0:1]
	s_set_inst_prefetch_distance 0x1
	s_branch .LBB23_52
	.p2align	6
.LBB23_51:                              ;   in Loop: Header=BB23_52 Depth=1
	s_or_b32 exec_lo, exec_lo, s7
	s_delay_alu instid0(SALU_CYCLE_1) | instskip(NEXT) | instid1(SALU_CYCLE_1)
	s_and_b32 s0, exec_lo, s1
	s_or_b32 s2, s0, s2
	s_and_not1_b32 s0, s6, exec_lo
	s_and_b32 s6, s3, exec_lo
	s_delay_alu instid0(SALU_CYCLE_1)
	s_or_b32 s6, s0, s6
	s_and_not1_b32 exec_lo, exec_lo, s2
	s_cbranch_execz .LBB23_54
.LBB23_52:                              ; =>This Inner Loop Header: Depth=1
	v_cmp_lt_f64_e64 s0, v[2:3], v[0:1]
	s_and_b32 s7, vcc_lo, s6
	s_and_not1_b32 s3, s3, exec_lo
	s_or_b32 s1, s1, exec_lo
	s_delay_alu instid0(VALU_DEP_1) | instskip(NEXT) | instid1(SALU_CYCLE_1)
	s_or_b32 s0, s0, s7
	s_and_saveexec_b32 s7, s0
	s_cbranch_execz .LBB23_51
; %bb.53:                               ;   in Loop: Header=BB23_52 Depth=1
	global_atomic_cmpswap_b64 v[5:6], v4, v[0:3], s[4:5] glc
	s_and_not1_b32 s3, s3, exec_lo
	s_and_not1_b32 s1, s1, exec_lo
	s_waitcnt vmcnt(0)
	v_cmp_eq_u64_e64 s0, v[5:6], v[2:3]
	s_delay_alu instid0(VALU_DEP_1) | instskip(SKIP_2) | instid1(SALU_CYCLE_1)
	v_cndmask_b32_e64 v3, v6, v3, s0
	v_cndmask_b32_e64 v2, v5, v2, s0
	s_and_b32 s0, s0, exec_lo
	s_or_b32 s1, s1, s0
	s_delay_alu instid0(VALU_DEP_1) | instskip(SKIP_1) | instid1(VALU_DEP_2)
	v_cmp_class_f64_e64 s6, v[2:3], 32
	v_dual_mov_b32 v2, v5 :: v_dual_mov_b32 v3, v6
	s_and_b32 s6, s6, exec_lo
	s_delay_alu instid0(SALU_CYCLE_1)
	s_or_b32 s3, s3, s6
                                        ; implicit-def: $sgpr6
	s_branch .LBB23_51
.LBB23_54:
	s_set_inst_prefetch_distance 0x2
	s_endpgm
	.section	.rodata,"a",@progbits
	.p2align	6, 0x0
	.amdhsa_kernel _ZN9rocsparseL16kernel_calculateILi1024ELi8ELb1EdiiEEvT4_T3_PKS2_S4_PKS1_PKT2_21rocsparse_index_base_S4_S4_S6_S4_S4_S6_S4_PS7_PNS_15floating_traitsIS7_E6data_tEPKSE_
		.amdhsa_group_segment_fixed_size 1024
		.amdhsa_private_segment_fixed_size 0
		.amdhsa_kernarg_size 128
		.amdhsa_user_sgpr_count 15
		.amdhsa_user_sgpr_dispatch_ptr 0
		.amdhsa_user_sgpr_queue_ptr 0
		.amdhsa_user_sgpr_kernarg_segment_ptr 1
		.amdhsa_user_sgpr_dispatch_id 0
		.amdhsa_user_sgpr_private_segment_size 0
		.amdhsa_wavefront_size32 1
		.amdhsa_uses_dynamic_stack 0
		.amdhsa_enable_private_segment 0
		.amdhsa_system_sgpr_workgroup_id_x 1
		.amdhsa_system_sgpr_workgroup_id_y 0
		.amdhsa_system_sgpr_workgroup_id_z 0
		.amdhsa_system_sgpr_workgroup_info 0
		.amdhsa_system_vgpr_workitem_id 0
		.amdhsa_next_free_vgpr 33
		.amdhsa_next_free_sgpr 42
		.amdhsa_reserve_vcc 1
		.amdhsa_float_round_mode_32 0
		.amdhsa_float_round_mode_16_64 0
		.amdhsa_float_denorm_mode_32 3
		.amdhsa_float_denorm_mode_16_64 3
		.amdhsa_dx10_clamp 1
		.amdhsa_ieee_mode 1
		.amdhsa_fp16_overflow 0
		.amdhsa_workgroup_processor_mode 1
		.amdhsa_memory_ordered 1
		.amdhsa_forward_progress 0
		.amdhsa_shared_vgpr_count 0
		.amdhsa_exception_fp_ieee_invalid_op 0
		.amdhsa_exception_fp_denorm_src 0
		.amdhsa_exception_fp_ieee_div_zero 0
		.amdhsa_exception_fp_ieee_overflow 0
		.amdhsa_exception_fp_ieee_underflow 0
		.amdhsa_exception_fp_ieee_inexact 0
		.amdhsa_exception_int_div_zero 0
	.end_amdhsa_kernel
	.section	.text._ZN9rocsparseL16kernel_calculateILi1024ELi8ELb1EdiiEEvT4_T3_PKS2_S4_PKS1_PKT2_21rocsparse_index_base_S4_S4_S6_S4_S4_S6_S4_PS7_PNS_15floating_traitsIS7_E6data_tEPKSE_,"axG",@progbits,_ZN9rocsparseL16kernel_calculateILi1024ELi8ELb1EdiiEEvT4_T3_PKS2_S4_PKS1_PKT2_21rocsparse_index_base_S4_S4_S6_S4_S4_S6_S4_PS7_PNS_15floating_traitsIS7_E6data_tEPKSE_,comdat
.Lfunc_end23:
	.size	_ZN9rocsparseL16kernel_calculateILi1024ELi8ELb1EdiiEEvT4_T3_PKS2_S4_PKS1_PKT2_21rocsparse_index_base_S4_S4_S6_S4_S4_S6_S4_PS7_PNS_15floating_traitsIS7_E6data_tEPKSE_, .Lfunc_end23-_ZN9rocsparseL16kernel_calculateILi1024ELi8ELb1EdiiEEvT4_T3_PKS2_S4_PKS1_PKT2_21rocsparse_index_base_S4_S4_S6_S4_S4_S6_S4_PS7_PNS_15floating_traitsIS7_E6data_tEPKSE_
                                        ; -- End function
	.section	.AMDGPU.csdata,"",@progbits
; Kernel info:
; codeLenInByte = 2904
; NumSgprs: 44
; NumVgprs: 33
; ScratchSize: 0
; MemoryBound: 1
; FloatMode: 240
; IeeeMode: 1
; LDSByteSize: 1024 bytes/workgroup (compile time only)
; SGPRBlocks: 5
; VGPRBlocks: 4
; NumSGPRsForWavesPerEU: 44
; NumVGPRsForWavesPerEU: 33
; Occupancy: 16
; WaveLimiterHint : 1
; COMPUTE_PGM_RSRC2:SCRATCH_EN: 0
; COMPUTE_PGM_RSRC2:USER_SGPR: 15
; COMPUTE_PGM_RSRC2:TRAP_HANDLER: 0
; COMPUTE_PGM_RSRC2:TGID_X_EN: 1
; COMPUTE_PGM_RSRC2:TGID_Y_EN: 0
; COMPUTE_PGM_RSRC2:TGID_Z_EN: 0
; COMPUTE_PGM_RSRC2:TIDIG_COMP_CNT: 0
	.section	.text._ZN9rocsparseL16kernel_calculateILi1024ELi16ELb1EdiiEEvT4_T3_PKS2_S4_PKS1_PKT2_21rocsparse_index_base_S4_S4_S6_S4_S4_S6_S4_PS7_PNS_15floating_traitsIS7_E6data_tEPKSE_,"axG",@progbits,_ZN9rocsparseL16kernel_calculateILi1024ELi16ELb1EdiiEEvT4_T3_PKS2_S4_PKS1_PKT2_21rocsparse_index_base_S4_S4_S6_S4_S4_S6_S4_PS7_PNS_15floating_traitsIS7_E6data_tEPKSE_,comdat
	.globl	_ZN9rocsparseL16kernel_calculateILi1024ELi16ELb1EdiiEEvT4_T3_PKS2_S4_PKS1_PKT2_21rocsparse_index_base_S4_S4_S6_S4_S4_S6_S4_PS7_PNS_15floating_traitsIS7_E6data_tEPKSE_ ; -- Begin function _ZN9rocsparseL16kernel_calculateILi1024ELi16ELb1EdiiEEvT4_T3_PKS2_S4_PKS1_PKT2_21rocsparse_index_base_S4_S4_S6_S4_S4_S6_S4_PS7_PNS_15floating_traitsIS7_E6data_tEPKSE_
	.p2align	8
	.type	_ZN9rocsparseL16kernel_calculateILi1024ELi16ELb1EdiiEEvT4_T3_PKS2_S4_PKS1_PKT2_21rocsparse_index_base_S4_S4_S6_S4_S4_S6_S4_PS7_PNS_15floating_traitsIS7_E6data_tEPKSE_,@function
_ZN9rocsparseL16kernel_calculateILi1024ELi16ELb1EdiiEEvT4_T3_PKS2_S4_PKS1_PKT2_21rocsparse_index_base_S4_S4_S6_S4_S4_S6_S4_PS7_PNS_15floating_traitsIS7_E6data_tEPKSE_: ; @_ZN9rocsparseL16kernel_calculateILi1024ELi16ELb1EdiiEEvT4_T3_PKS2_S4_PKS1_PKT2_21rocsparse_index_base_S4_S4_S6_S4_S4_S6_S4_PS7_PNS_15floating_traitsIS7_E6data_tEPKSE_
; %bb.0:
	s_load_b32 s5, s[0:1], 0x0
	v_lshrrev_b32_e32 v25, 4, v0
	v_dual_mov_b32 v1, 0 :: v_dual_and_b32 v26, 15, v0
	v_mov_b32_e32 v2, 0
	s_mov_b32 s6, exec_lo
	s_delay_alu instid0(VALU_DEP_3) | instskip(SKIP_1) | instid1(VALU_DEP_1)
	v_lshl_or_b32 v27, s15, 10, v25
	s_waitcnt lgkmcnt(0)
	v_cmpx_gt_i32_e64 s5, v27
	s_cbranch_execz .LBB24_33
; %bb.1:
	s_clause 0x3
	s_load_b32 s7, s[0:1], 0x28
	s_load_b256 s[8:15], s[0:1], 0x50
	s_load_b256 s[16:23], s[0:1], 0x30
	;; [unrolled: 1-line block ×3, first 2 shown]
	v_mov_b32_e32 v1, 0
	v_mov_b32_e32 v2, 0
	s_mov_b32 s33, 0
	s_waitcnt lgkmcnt(0)
	v_subrev_nc_u32_e32 v28, s7, v26
	s_branch .LBB24_5
.LBB24_2:                               ;   in Loop: Header=BB24_5 Depth=1
	s_or_b32 exec_lo, exec_lo, s36
.LBB24_3:                               ;   in Loop: Header=BB24_5 Depth=1
	s_delay_alu instid0(SALU_CYCLE_1)
	s_or_b32 exec_lo, exec_lo, s35
.LBB24_4:                               ;   in Loop: Header=BB24_5 Depth=1
	s_delay_alu instid0(SALU_CYCLE_1) | instskip(SKIP_1) | instid1(SALU_CYCLE_1)
	s_or_b32 exec_lo, exec_lo, s34
	s_add_i32 s33, s33, 1
	s_cmp_lg_u32 s33, 16
	s_cbranch_scc0 .LBB24_33
.LBB24_5:                               ; =>This Loop Header: Depth=1
                                        ;     Child Loop BB24_9 Depth 2
                                        ;       Child Loop BB24_12 Depth 3
                                        ;       Child Loop BB24_18 Depth 3
	;; [unrolled: 1-line block ×3, first 2 shown]
	v_lshl_add_u32 v3, s33, 6, v27
	s_mov_b32 s34, exec_lo
	s_delay_alu instid0(VALU_DEP_1)
	v_cmpx_gt_i32_e64 s5, v3
	s_cbranch_execz .LBB24_4
; %bb.6:                                ;   in Loop: Header=BB24_5 Depth=1
	v_ashrrev_i32_e32 v4, 31, v3
	s_mov_b32 s35, exec_lo
	s_delay_alu instid0(VALU_DEP_1) | instskip(NEXT) | instid1(VALU_DEP_1)
	v_lshlrev_b64 v[5:6], 2, v[3:4]
	v_add_co_u32 v7, vcc_lo, s26, v5
	s_delay_alu instid0(VALU_DEP_2)
	v_add_co_ci_u32_e32 v8, vcc_lo, s27, v6, vcc_lo
	v_add_co_u32 v9, vcc_lo, s24, v5
	v_add_co_ci_u32_e32 v10, vcc_lo, s25, v6, vcc_lo
	global_load_b32 v4, v[7:8], off
	global_load_b32 v7, v[9:10], off
	s_waitcnt vmcnt(1)
	v_subrev_nc_u32_e32 v29, s7, v4
	s_waitcnt vmcnt(0)
	v_add_nc_u32_e32 v4, v28, v7
	s_delay_alu instid0(VALU_DEP_1)
	v_cmpx_lt_i32_e64 v4, v29
	s_cbranch_execz .LBB24_3
; %bb.7:                                ;   in Loop: Header=BB24_5 Depth=1
	v_add_co_u32 v7, vcc_lo, s18, v5
	v_add_co_ci_u32_e32 v8, vcc_lo, s19, v6, vcc_lo
	v_add_co_u32 v5, vcc_lo, s16, v5
	v_add_co_ci_u32_e32 v6, vcc_lo, s17, v6, vcc_lo
	s_mov_b32 s36, 0
	global_load_b32 v7, v[7:8], off
	global_load_b32 v5, v[5:6], off
	s_waitcnt vmcnt(1)
	v_subrev_nc_u32_e32 v30, s7, v7
	s_waitcnt vmcnt(0)
	v_subrev_nc_u32_e32 v31, s7, v5
	v_cmp_lt_i32_e64 s2, v5, v7
	s_branch .LBB24_9
.LBB24_8:                               ;   in Loop: Header=BB24_9 Depth=2
	s_or_b32 exec_lo, exec_lo, s3
	v_add_f64 v[7:8], v[9:10], v[17:18]
	v_cmp_eq_u32_e32 vcc_lo, v3, v6
	v_add_nc_u32_e32 v4, 16, v4
	s_delay_alu instid0(VALU_DEP_1) | instskip(NEXT) | instid1(VALU_DEP_4)
	v_cmp_ge_i32_e64 s4, v4, v29
	v_dual_cndmask_b32 v6, v18, v8 :: v_dual_cndmask_b32 v5, v17, v7
	s_delay_alu instid0(VALU_DEP_1) | instskip(NEXT) | instid1(VALU_DEP_1)
	v_and_b32_e32 v6, 0x7fffffff, v6
	v_cmp_nlg_f64_e32 vcc_lo, 0x7ff00000, v[5:6]
	v_cmp_gt_f64_e64 s3, v[1:2], v[5:6]
	s_delay_alu instid0(VALU_DEP_1)
	s_or_b32 vcc_lo, vcc_lo, s3
	s_or_b32 s36, s4, s36
	v_dual_cndmask_b32 v1, v5, v1 :: v_dual_cndmask_b32 v2, v6, v2
	s_and_not1_b32 exec_lo, exec_lo, s36
	s_cbranch_execz .LBB24_2
.LBB24_9:                               ;   Parent Loop BB24_5 Depth=1
                                        ; =>  This Loop Header: Depth=2
                                        ;       Child Loop BB24_12 Depth 3
                                        ;       Child Loop BB24_18 Depth 3
	;; [unrolled: 1-line block ×3, first 2 shown]
	v_ashrrev_i32_e32 v5, 31, v4
	s_delay_alu instid0(VALU_DEP_1) | instskip(NEXT) | instid1(VALU_DEP_1)
	v_lshlrev_b64 v[6:7], 2, v[4:5]
	v_add_co_u32 v6, vcc_lo, s28, v6
	s_delay_alu instid0(VALU_DEP_2) | instskip(SKIP_3) | instid1(VALU_DEP_1)
	v_add_co_ci_u32_e32 v7, vcc_lo, s29, v7, vcc_lo
	global_load_b32 v32, v[6:7], off
	s_waitcnt vmcnt(0)
	v_subrev_nc_u32_e32 v6, s7, v32
	v_ashrrev_i32_e32 v7, 31, v6
	s_delay_alu instid0(VALU_DEP_1) | instskip(NEXT) | instid1(VALU_DEP_1)
	v_lshlrev_b64 v[9:10], 2, v[6:7]
	v_add_co_u32 v7, vcc_lo, s18, v9
	s_delay_alu instid0(VALU_DEP_2)
	v_add_co_ci_u32_e32 v8, vcc_lo, s19, v10, vcc_lo
	v_add_co_u32 v13, vcc_lo, s8, v9
	v_add_co_ci_u32_e32 v14, vcc_lo, s9, v10, vcc_lo
	global_load_b32 v11, v[7:8], off
	v_lshlrev_b64 v[7:8], 3, v[4:5]
	v_add_co_u32 v9, vcc_lo, s22, v9
	v_add_co_ci_u32_e32 v10, vcc_lo, s23, v10, vcc_lo
	global_load_b32 v13, v[13:14], off
	global_load_b32 v14, v[9:10], off
	v_add_co_u32 v15, vcc_lo, s30, v7
	v_add_co_ci_u32_e32 v16, vcc_lo, s31, v8, vcc_lo
	s_waitcnt vmcnt(2)
	v_subrev_nc_u32_e32 v11, s7, v11
	s_delay_alu instid0(VALU_DEP_1)
	v_ashrrev_i32_e32 v12, 31, v11
	s_waitcnt vmcnt(1)
	v_subrev_nc_u32_e32 v5, s7, v13
	s_waitcnt vmcnt(0)
	v_subrev_nc_u32_e32 v19, s7, v14
	v_lshlrev_b64 v[11:12], 3, v[11:12]
	s_delay_alu instid0(VALU_DEP_1) | instskip(NEXT) | instid1(VALU_DEP_2)
	v_add_co_u32 v9, vcc_lo, s14, v11
	v_add_co_ci_u32_e32 v10, vcc_lo, s15, v12, vcc_lo
	v_cmp_lt_i32_e32 vcc_lo, v14, v13
	global_load_b64 v[11:12], v[15:16], off
	global_load_b64 v[9:10], v[9:10], off
	v_mov_b32_e32 v13, 0
	v_dual_mov_b32 v14, 0 :: v_dual_mov_b32 v15, v31
	s_and_b32 s3, s2, vcc_lo
	s_delay_alu instid0(SALU_CYCLE_1)
	s_and_saveexec_b32 s4, s3
	s_cbranch_execz .LBB24_15
; %bb.10:                               ;   in Loop: Header=BB24_9 Depth=2
	v_mov_b32_e32 v13, 0
	v_dual_mov_b32 v14, 0 :: v_dual_mov_b32 v15, v31
	s_mov_b32 s37, 0
	s_branch .LBB24_12
.LBB24_11:                              ;   in Loop: Header=BB24_12 Depth=3
	s_or_b32 exec_lo, exec_lo, s3
	v_cmp_le_i32_e32 vcc_lo, v20, v21
	v_add_co_ci_u32_e32 v15, vcc_lo, 0, v15, vcc_lo
	v_cmp_ge_i32_e32 vcc_lo, v20, v21
	v_add_co_ci_u32_e32 v19, vcc_lo, 0, v19, vcc_lo
	s_delay_alu instid0(VALU_DEP_3) | instskip(NEXT) | instid1(VALU_DEP_2)
	v_cmp_ge_i32_e32 vcc_lo, v15, v30
	v_cmp_ge_i32_e64 s3, v19, v5
	s_delay_alu instid0(VALU_DEP_1) | instskip(NEXT) | instid1(SALU_CYCLE_1)
	s_or_b32 s3, vcc_lo, s3
	s_and_b32 s3, exec_lo, s3
	s_delay_alu instid0(SALU_CYCLE_1) | instskip(NEXT) | instid1(SALU_CYCLE_1)
	s_or_b32 s37, s3, s37
	s_and_not1_b32 exec_lo, exec_lo, s37
	s_cbranch_execz .LBB24_14
.LBB24_12:                              ;   Parent Loop BB24_5 Depth=1
                                        ;     Parent Loop BB24_9 Depth=2
                                        ; =>    This Inner Loop Header: Depth=3
	s_delay_alu instid0(VALU_DEP_1) | instskip(SKIP_2) | instid1(VALU_DEP_2)
	v_ashrrev_i32_e32 v16, 31, v15
	v_ashrrev_i32_e32 v20, 31, v19
	s_mov_b32 s3, exec_lo
	v_lshlrev_b64 v[21:22], 2, v[15:16]
	s_delay_alu instid0(VALU_DEP_2) | instskip(NEXT) | instid1(VALU_DEP_2)
	v_lshlrev_b64 v[17:18], 2, v[19:20]
	v_add_co_u32 v20, vcc_lo, s20, v21
	s_delay_alu instid0(VALU_DEP_3) | instskip(NEXT) | instid1(VALU_DEP_3)
	v_add_co_ci_u32_e32 v21, vcc_lo, s21, v22, vcc_lo
	v_add_co_u32 v22, vcc_lo, s10, v17
	s_delay_alu instid0(VALU_DEP_4)
	v_add_co_ci_u32_e32 v23, vcc_lo, s11, v18, vcc_lo
	global_load_b32 v20, v[20:21], off
	global_load_b32 v21, v[22:23], off
	s_waitcnt vmcnt(0)
	v_cmpx_eq_u32_e64 v20, v21
	s_cbranch_execz .LBB24_11
; %bb.13:                               ;   in Loop: Header=BB24_12 Depth=3
	v_add_co_u32 v17, vcc_lo, s12, v17
	v_add_co_ci_u32_e32 v18, vcc_lo, s13, v18, vcc_lo
	v_lshlrev_b64 v[22:23], 3, v[15:16]
	global_load_b32 v17, v[17:18], off
	v_add_co_u32 v22, vcc_lo, s14, v22
	v_add_co_ci_u32_e32 v23, vcc_lo, s15, v23, vcc_lo
	s_waitcnt vmcnt(0)
	v_ashrrev_i32_e32 v18, 31, v17
	s_delay_alu instid0(VALU_DEP_1) | instskip(NEXT) | instid1(VALU_DEP_1)
	v_lshlrev_b64 v[16:17], 3, v[17:18]
	v_add_co_u32 v16, vcc_lo, s14, v16
	s_delay_alu instid0(VALU_DEP_2)
	v_add_co_ci_u32_e32 v17, vcc_lo, s15, v17, vcc_lo
	s_clause 0x1
	global_load_b64 v[22:23], v[22:23], off
	global_load_b64 v[16:17], v[16:17], off
	s_waitcnt vmcnt(0)
	v_fma_f64 v[13:14], v[22:23], v[16:17], v[13:14]
	s_branch .LBB24_11
.LBB24_14:                              ;   in Loop: Header=BB24_9 Depth=2
	s_or_b32 exec_lo, exec_lo, s37
.LBB24_15:                              ;   in Loop: Header=BB24_9 Depth=2
	s_delay_alu instid0(SALU_CYCLE_1)
	s_or_b32 exec_lo, exec_lo, s4
	s_waitcnt vmcnt(1)
	v_add_f64 v[17:18], v[13:14], -v[11:12]
	s_mov_b32 s4, exec_lo
	v_cmpx_lt_i32_e64 v19, v5
	s_cbranch_execz .LBB24_23
; %bb.16:                               ;   in Loop: Header=BB24_9 Depth=2
	v_ashrrev_i32_e32 v20, 31, v19
	s_mov_b32 s37, 0
                                        ; implicit-def: $sgpr38
                                        ; implicit-def: $sgpr40
                                        ; implicit-def: $sgpr39
	s_delay_alu instid0(VALU_DEP_1) | instskip(NEXT) | instid1(VALU_DEP_1)
	v_lshlrev_b64 v[21:22], 2, v[19:20]
	v_add_co_u32 v21, vcc_lo, s10, v21
	s_delay_alu instid0(VALU_DEP_2)
	v_add_co_ci_u32_e32 v22, vcc_lo, s11, v22, vcc_lo
	s_set_inst_prefetch_distance 0x1
	s_branch .LBB24_18
	.p2align	6
.LBB24_17:                              ;   in Loop: Header=BB24_18 Depth=3
	s_or_b32 exec_lo, exec_lo, s41
	s_delay_alu instid0(SALU_CYCLE_1) | instskip(NEXT) | instid1(SALU_CYCLE_1)
	s_and_b32 s3, exec_lo, s40
	s_or_b32 s37, s3, s37
	s_and_not1_b32 s3, s38, exec_lo
	s_and_b32 s38, s39, exec_lo
	s_delay_alu instid0(SALU_CYCLE_1)
	s_or_b32 s38, s3, s38
	s_and_not1_b32 exec_lo, exec_lo, s37
	s_cbranch_execz .LBB24_20
.LBB24_18:                              ;   Parent Loop BB24_5 Depth=1
                                        ;     Parent Loop BB24_9 Depth=2
                                        ; =>    This Inner Loop Header: Depth=3
	global_load_b32 v16, v[21:22], off
	v_dual_mov_b32 v24, v20 :: v_dual_mov_b32 v23, v19
	s_or_b32 s39, s39, exec_lo
	s_or_b32 s40, s40, exec_lo
	s_mov_b32 s41, exec_lo
                                        ; implicit-def: $vgpr19_vgpr20
	s_waitcnt vmcnt(0)
	v_subrev_nc_u32_e32 v16, s7, v16
	s_delay_alu instid0(VALU_DEP_1)
	v_cmpx_ne_u32_e64 v16, v3
	s_cbranch_execz .LBB24_17
; %bb.19:                               ;   in Loop: Header=BB24_18 Depth=3
	v_add_co_u32 v19, vcc_lo, v23, 1
	v_add_co_ci_u32_e32 v20, vcc_lo, 0, v24, vcc_lo
	v_add_co_u32 v21, s3, v21, 4
	s_delay_alu instid0(VALU_DEP_3) | instskip(SKIP_4) | instid1(SALU_CYCLE_1)
	v_cmp_ge_i32_e32 vcc_lo, v19, v5
	v_add_co_ci_u32_e64 v22, s3, 0, v22, s3
	s_and_not1_b32 s3, s40, exec_lo
	s_and_not1_b32 s39, s39, exec_lo
	s_and_b32 s40, vcc_lo, exec_lo
	s_or_b32 s40, s3, s40
	s_branch .LBB24_17
.LBB24_20:                              ;   in Loop: Header=BB24_9 Depth=2
	s_set_inst_prefetch_distance 0x2
	s_or_b32 exec_lo, exec_lo, s37
	s_and_saveexec_b32 s3, s38
	s_delay_alu instid0(SALU_CYCLE_1)
	s_xor_b32 s3, exec_lo, s3
	s_cbranch_execz .LBB24_22
; %bb.21:                               ;   in Loop: Header=BB24_9 Depth=2
	v_lshlrev_b64 v[19:20], 2, v[23:24]
	s_delay_alu instid0(VALU_DEP_1) | instskip(NEXT) | instid1(VALU_DEP_2)
	v_add_co_u32 v19, vcc_lo, s12, v19
	v_add_co_ci_u32_e32 v20, vcc_lo, s13, v20, vcc_lo
	global_load_b32 v19, v[19:20], off
	s_waitcnt vmcnt(0)
	v_ashrrev_i32_e32 v20, 31, v19
	s_delay_alu instid0(VALU_DEP_1) | instskip(NEXT) | instid1(VALU_DEP_1)
	v_lshlrev_b64 v[19:20], 3, v[19:20]
	v_add_co_u32 v19, vcc_lo, s14, v19
	s_delay_alu instid0(VALU_DEP_2)
	v_add_co_ci_u32_e32 v20, vcc_lo, s15, v20, vcc_lo
	global_load_b64 v[19:20], v[19:20], off
	s_waitcnt vmcnt(0)
	v_add_f64 v[17:18], v[17:18], v[19:20]
.LBB24_22:                              ;   in Loop: Header=BB24_9 Depth=2
	s_or_b32 exec_lo, exec_lo, s3
.LBB24_23:                              ;   in Loop: Header=BB24_9 Depth=2
	s_delay_alu instid0(SALU_CYCLE_1) | instskip(NEXT) | instid1(SALU_CYCLE_1)
	s_or_b32 exec_lo, exec_lo, s4
	s_mov_b32 s4, exec_lo
	v_cmpx_lt_i32_e64 v15, v30
	s_cbranch_execz .LBB24_31
; %bb.24:                               ;   in Loop: Header=BB24_9 Depth=2
	v_ashrrev_i32_e32 v16, 31, v15
	s_mov_b32 s37, 0
                                        ; implicit-def: $sgpr38
                                        ; implicit-def: $sgpr40
                                        ; implicit-def: $sgpr39
	s_delay_alu instid0(VALU_DEP_1) | instskip(NEXT) | instid1(VALU_DEP_1)
	v_lshlrev_b64 v[19:20], 2, v[15:16]
	v_add_co_u32 v19, vcc_lo, s20, v19
	s_delay_alu instid0(VALU_DEP_2)
	v_add_co_ci_u32_e32 v20, vcc_lo, s21, v20, vcc_lo
	s_set_inst_prefetch_distance 0x1
	s_branch .LBB24_26
	.p2align	6
.LBB24_25:                              ;   in Loop: Header=BB24_26 Depth=3
	s_or_b32 exec_lo, exec_lo, s41
	s_delay_alu instid0(SALU_CYCLE_1) | instskip(NEXT) | instid1(SALU_CYCLE_1)
	s_and_b32 s3, exec_lo, s40
	s_or_b32 s37, s3, s37
	s_and_not1_b32 s3, s38, exec_lo
	s_and_b32 s38, s39, exec_lo
	s_delay_alu instid0(SALU_CYCLE_1)
	s_or_b32 s38, s3, s38
	s_and_not1_b32 exec_lo, exec_lo, s37
	s_cbranch_execz .LBB24_28
.LBB24_26:                              ;   Parent Loop BB24_5 Depth=1
                                        ;     Parent Loop BB24_9 Depth=2
                                        ; =>    This Inner Loop Header: Depth=3
	global_load_b32 v5, v[19:20], off
	v_dual_mov_b32 v22, v16 :: v_dual_mov_b32 v21, v15
	s_or_b32 s39, s39, exec_lo
	s_or_b32 s40, s40, exec_lo
	s_mov_b32 s41, exec_lo
                                        ; implicit-def: $vgpr15_vgpr16
	s_waitcnt vmcnt(0)
	v_cmpx_ne_u32_e64 v5, v32
	s_cbranch_execz .LBB24_25
; %bb.27:                               ;   in Loop: Header=BB24_26 Depth=3
	v_add_co_u32 v15, vcc_lo, v21, 1
	v_add_co_ci_u32_e32 v16, vcc_lo, 0, v22, vcc_lo
	v_add_co_u32 v19, s3, v19, 4
	s_delay_alu instid0(VALU_DEP_3) | instskip(SKIP_4) | instid1(SALU_CYCLE_1)
	v_cmp_ge_i32_e32 vcc_lo, v15, v30
	v_add_co_ci_u32_e64 v20, s3, 0, v20, s3
	s_and_not1_b32 s3, s40, exec_lo
	s_and_not1_b32 s39, s39, exec_lo
	s_and_b32 s40, vcc_lo, exec_lo
	s_or_b32 s40, s3, s40
	s_branch .LBB24_25
.LBB24_28:                              ;   in Loop: Header=BB24_9 Depth=2
	s_set_inst_prefetch_distance 0x2
	s_or_b32 exec_lo, exec_lo, s37
	s_and_saveexec_b32 s3, s38
	s_delay_alu instid0(SALU_CYCLE_1)
	s_xor_b32 s3, exec_lo, s3
	s_cbranch_execz .LBB24_30
; %bb.29:                               ;   in Loop: Header=BB24_9 Depth=2
	v_lshlrev_b64 v[15:16], 3, v[21:22]
	s_delay_alu instid0(VALU_DEP_1) | instskip(NEXT) | instid1(VALU_DEP_2)
	v_add_co_u32 v15, vcc_lo, s14, v15
	v_add_co_ci_u32_e32 v16, vcc_lo, s15, v16, vcc_lo
	global_load_b64 v[15:16], v[15:16], off
	s_waitcnt vmcnt(0)
	v_fma_f64 v[17:18], v[15:16], v[9:10], v[17:18]
.LBB24_30:                              ;   in Loop: Header=BB24_9 Depth=2
	s_or_b32 exec_lo, exec_lo, s3
.LBB24_31:                              ;   in Loop: Header=BB24_9 Depth=2
	s_delay_alu instid0(SALU_CYCLE_1) | instskip(SKIP_2) | instid1(VALU_DEP_1)
	s_or_b32 exec_lo, exec_lo, s4
	v_add_f64 v[11:12], v[11:12], -v[13:14]
	s_waitcnt vmcnt(0)
	v_div_scale_f64 v[13:14], null, v[9:10], v[9:10], v[11:12]
	v_div_scale_f64 v[21:22], vcc_lo, v[11:12], v[9:10], v[11:12]
	s_delay_alu instid0(VALU_DEP_2) | instskip(SKIP_2) | instid1(VALU_DEP_1)
	v_rcp_f64_e32 v[15:16], v[13:14]
	s_waitcnt_depctr 0xfff
	v_fma_f64 v[19:20], -v[13:14], v[15:16], 1.0
	v_fma_f64 v[15:16], v[15:16], v[19:20], v[15:16]
	s_delay_alu instid0(VALU_DEP_1) | instskip(NEXT) | instid1(VALU_DEP_1)
	v_fma_f64 v[19:20], -v[13:14], v[15:16], 1.0
	v_fma_f64 v[15:16], v[15:16], v[19:20], v[15:16]
	s_delay_alu instid0(VALU_DEP_1) | instskip(NEXT) | instid1(VALU_DEP_1)
	v_mul_f64 v[19:20], v[21:22], v[15:16]
	v_fma_f64 v[13:14], -v[13:14], v[19:20], v[21:22]
	s_delay_alu instid0(VALU_DEP_1) | instskip(SKIP_1) | instid1(VALU_DEP_2)
	v_div_fmas_f64 v[13:14], v[13:14], v[15:16], v[19:20]
	v_cmp_gt_i32_e32 vcc_lo, v3, v6
	v_div_fixup_f64 v[13:14], v[13:14], v[9:10], v[11:12]
	s_delay_alu instid0(VALU_DEP_1) | instskip(NEXT) | instid1(VALU_DEP_1)
	v_dual_cndmask_b32 v12, v12, v14 :: v_dual_cndmask_b32 v11, v11, v13
	v_cmp_class_f64_e64 s4, v[11:12], 0x1f8
	s_delay_alu instid0(VALU_DEP_1)
	s_and_saveexec_b32 s3, s4
	s_cbranch_execz .LBB24_8
; %bb.32:                               ;   in Loop: Header=BB24_9 Depth=2
	v_add_co_u32 v7, vcc_lo, s14, v7
	v_add_co_ci_u32_e32 v8, vcc_lo, s15, v8, vcc_lo
	global_store_b64 v[7:8], v[11:12], off
	s_branch .LBB24_8
.LBB24_33:
	s_or_b32 exec_lo, exec_lo, s6
	v_mbcnt_lo_u32_b32 v5, -1, 0
	s_delay_alu instid0(VALU_DEP_1) | instskip(SKIP_1) | instid1(VALU_DEP_2)
	v_xor_b32_e32 v3, 8, v5
	v_xor_b32_e32 v6, 4, v5
	v_cmp_gt_i32_e32 vcc_lo, 32, v3
	s_delay_alu instid0(VALU_DEP_2) | instskip(NEXT) | instid1(VALU_DEP_1)
	v_cmp_gt_i32_e64 s2, 32, v6
	v_cndmask_b32_e64 v6, v5, v6, s2
	s_delay_alu instid0(VALU_DEP_1) | instskip(NEXT) | instid1(VALU_DEP_1)
	v_dual_cndmask_b32 v3, v5, v3 :: v_dual_lshlrev_b32 v6, 2, v6
	v_lshlrev_b32_e32 v4, 2, v3
	ds_bpermute_b32 v3, v4, v1
	ds_bpermute_b32 v4, v4, v2
	s_waitcnt lgkmcnt(0)
	v_cmp_lt_f64_e32 vcc_lo, v[1:2], v[3:4]
	v_dual_cndmask_b32 v2, v2, v4 :: v_dual_cndmask_b32 v1, v1, v3
	ds_bpermute_b32 v4, v6, v2
	ds_bpermute_b32 v3, v6, v1
	v_xor_b32_e32 v6, 2, v5
	s_delay_alu instid0(VALU_DEP_1) | instskip(NEXT) | instid1(VALU_DEP_1)
	v_cmp_gt_i32_e64 s2, 32, v6
	v_cndmask_b32_e64 v6, v5, v6, s2
	s_waitcnt lgkmcnt(0)
	v_cmp_lt_f64_e32 vcc_lo, v[1:2], v[3:4]
	s_delay_alu instid0(VALU_DEP_2) | instskip(SKIP_4) | instid1(VALU_DEP_1)
	v_dual_cndmask_b32 v1, v1, v3 :: v_dual_lshlrev_b32 v6, 2, v6
	v_cndmask_b32_e32 v2, v2, v4, vcc_lo
	ds_bpermute_b32 v3, v6, v1
	ds_bpermute_b32 v4, v6, v2
	v_xor_b32_e32 v6, 1, v5
	v_cmp_gt_i32_e64 s2, 32, v6
	s_delay_alu instid0(VALU_DEP_1) | instskip(SKIP_1) | instid1(VALU_DEP_1)
	v_cndmask_b32_e64 v5, v5, v6, s2
	s_mov_b32 s2, exec_lo
	v_lshlrev_b32_e32 v5, 2, v5
	s_waitcnt lgkmcnt(0)
	v_cmp_lt_f64_e32 vcc_lo, v[1:2], v[3:4]
	v_dual_cndmask_b32 v2, v2, v4 :: v_dual_cndmask_b32 v1, v1, v3
	ds_bpermute_b32 v4, v5, v2
	ds_bpermute_b32 v3, v5, v1
	v_cmpx_eq_u32_e32 15, v26
	s_cbranch_execz .LBB24_35
; %bb.34:
	s_waitcnt lgkmcnt(0)
	v_cmp_lt_f64_e32 vcc_lo, v[1:2], v[3:4]
	v_dual_cndmask_b32 v2, v2, v4 :: v_dual_lshlrev_b32 v5, 3, v25
	v_cndmask_b32_e32 v1, v1, v3, vcc_lo
	ds_store_b64 v5, v[1:2]
.LBB24_35:
	s_or_b32 exec_lo, exec_lo, s2
	v_lshlrev_b32_e32 v1, 3, v0
	s_mov_b32 s2, exec_lo
	s_waitcnt lgkmcnt(0)
	s_waitcnt_vscnt null, 0x0
	s_barrier
	buffer_gl0_inv
	v_cmpx_gt_u32_e32 32, v0
	s_cbranch_execz .LBB24_37
; %bb.36:
	ds_load_2addr_b64 v[2:5], v1 offset1:32
	s_waitcnt lgkmcnt(0)
	v_cmp_lt_f64_e32 vcc_lo, v[2:3], v[4:5]
	v_dual_cndmask_b32 v3, v3, v5 :: v_dual_cndmask_b32 v2, v2, v4
	ds_store_b64 v1, v[2:3]
.LBB24_37:
	s_or_b32 exec_lo, exec_lo, s2
	s_delay_alu instid0(SALU_CYCLE_1)
	s_mov_b32 s2, exec_lo
	s_waitcnt lgkmcnt(0)
	s_barrier
	buffer_gl0_inv
	v_cmpx_gt_u32_e32 16, v0
	s_cbranch_execz .LBB24_39
; %bb.38:
	ds_load_2addr_b64 v[2:5], v1 offset1:16
	s_waitcnt lgkmcnt(0)
	v_cmp_lt_f64_e32 vcc_lo, v[2:3], v[4:5]
	v_dual_cndmask_b32 v3, v3, v5 :: v_dual_cndmask_b32 v2, v2, v4
	ds_store_b64 v1, v[2:3]
.LBB24_39:
	s_or_b32 exec_lo, exec_lo, s2
	s_delay_alu instid0(SALU_CYCLE_1)
	s_mov_b32 s2, exec_lo
	s_waitcnt lgkmcnt(0)
	s_barrier
	buffer_gl0_inv
	v_cmpx_gt_u32_e32 8, v0
	s_cbranch_execz .LBB24_41
; %bb.40:
	ds_load_2addr_b64 v[2:5], v1 offset1:8
	s_waitcnt lgkmcnt(0)
	v_cmp_lt_f64_e32 vcc_lo, v[2:3], v[4:5]
	v_dual_cndmask_b32 v3, v3, v5 :: v_dual_cndmask_b32 v2, v2, v4
	ds_store_b64 v1, v[2:3]
.LBB24_41:
	s_or_b32 exec_lo, exec_lo, s2
	s_delay_alu instid0(SALU_CYCLE_1)
	s_mov_b32 s2, exec_lo
	s_waitcnt lgkmcnt(0)
	s_barrier
	buffer_gl0_inv
	v_cmpx_gt_u32_e32 4, v0
	s_cbranch_execz .LBB24_43
; %bb.42:
	ds_load_2addr_b64 v[2:5], v1 offset1:4
	s_waitcnt lgkmcnt(0)
	v_cmp_lt_f64_e32 vcc_lo, v[2:3], v[4:5]
	v_dual_cndmask_b32 v3, v3, v5 :: v_dual_cndmask_b32 v2, v2, v4
	ds_store_b64 v1, v[2:3]
.LBB24_43:
	s_or_b32 exec_lo, exec_lo, s2
	s_delay_alu instid0(SALU_CYCLE_1)
	s_mov_b32 s2, exec_lo
	s_waitcnt lgkmcnt(0)
	s_barrier
	buffer_gl0_inv
	v_cmpx_gt_u32_e32 2, v0
	s_cbranch_execz .LBB24_45
; %bb.44:
	ds_load_2addr_b64 v[2:5], v1 offset1:2
	s_waitcnt lgkmcnt(0)
	v_cmp_lt_f64_e32 vcc_lo, v[2:3], v[4:5]
	v_dual_cndmask_b32 v3, v3, v5 :: v_dual_cndmask_b32 v2, v2, v4
	ds_store_b64 v1, v[2:3]
.LBB24_45:
	s_or_b32 exec_lo, exec_lo, s2
	v_cmp_eq_u32_e32 vcc_lo, 0, v0
	s_waitcnt lgkmcnt(0)
	s_barrier
	buffer_gl0_inv
	s_and_saveexec_b32 s3, vcc_lo
	s_cbranch_execz .LBB24_47
; %bb.46:
	v_mov_b32_e32 v4, 0
	ds_load_b128 v[0:3], v4
	s_waitcnt lgkmcnt(0)
	v_cmp_lt_f64_e64 s2, v[0:1], v[2:3]
	s_delay_alu instid0(VALU_DEP_1)
	v_cndmask_b32_e64 v1, v1, v3, s2
	v_cndmask_b32_e64 v0, v0, v2, s2
	ds_store_b64 v4, v[0:1]
.LBB24_47:
	s_or_b32 exec_lo, exec_lo, s3
	s_waitcnt lgkmcnt(0)
	s_barrier
	buffer_gl0_inv
	s_and_saveexec_b32 s2, vcc_lo
	s_cbranch_execz .LBB24_52
; %bb.48:
	s_load_b128 s[4:7], s[0:1], 0x70
	v_mov_b32_e32 v4, 0
	s_brev_b32 s3, 1
	s_mov_b32 s2, 0
	ds_load_b64 v[0:1], v4
	s_waitcnt lgkmcnt(0)
	s_load_b64 s[0:1], s[6:7], 0x0
	global_load_b64 v[2:3], v4, s[4:5] glc
	s_waitcnt lgkmcnt(0)
	v_div_scale_f64 v[5:6], null, s[0:1], s[0:1], v[0:1]
	s_delay_alu instid0(VALU_DEP_1) | instskip(SKIP_2) | instid1(VALU_DEP_1)
	v_rcp_f64_e32 v[7:8], v[5:6]
	s_waitcnt_depctr 0xfff
	v_fma_f64 v[9:10], -v[5:6], v[7:8], 1.0
	v_fma_f64 v[7:8], v[7:8], v[9:10], v[7:8]
	s_delay_alu instid0(VALU_DEP_1) | instskip(NEXT) | instid1(VALU_DEP_1)
	v_fma_f64 v[9:10], -v[5:6], v[7:8], 1.0
	v_fma_f64 v[7:8], v[7:8], v[9:10], v[7:8]
	v_div_scale_f64 v[9:10], vcc_lo, v[0:1], s[0:1], v[0:1]
	s_delay_alu instid0(VALU_DEP_1) | instskip(NEXT) | instid1(VALU_DEP_1)
	v_mul_f64 v[11:12], v[9:10], v[7:8]
	v_fma_f64 v[5:6], -v[5:6], v[11:12], v[9:10]
	s_waitcnt vmcnt(0)
	v_cmp_eq_u64_e64 s6, s[2:3], v[2:3]
                                        ; implicit-def: $sgpr3
	s_delay_alu instid0(VALU_DEP_2) | instskip(NEXT) | instid1(VALU_DEP_1)
	v_div_fmas_f64 v[5:6], v[5:6], v[7:8], v[11:12]
	v_div_fixup_f64 v[0:1], v[5:6], s[0:1], v[0:1]
                                        ; implicit-def: $sgpr1
	s_delay_alu instid0(VALU_DEP_1)
	v_cmp_eq_f64_e32 vcc_lo, 0, v[0:1]
	s_set_inst_prefetch_distance 0x1
	s_branch .LBB24_50
	.p2align	6
.LBB24_49:                              ;   in Loop: Header=BB24_50 Depth=1
	s_or_b32 exec_lo, exec_lo, s7
	s_delay_alu instid0(SALU_CYCLE_1) | instskip(NEXT) | instid1(SALU_CYCLE_1)
	s_and_b32 s0, exec_lo, s1
	s_or_b32 s2, s0, s2
	s_and_not1_b32 s0, s6, exec_lo
	s_and_b32 s6, s3, exec_lo
	s_delay_alu instid0(SALU_CYCLE_1)
	s_or_b32 s6, s0, s6
	s_and_not1_b32 exec_lo, exec_lo, s2
	s_cbranch_execz .LBB24_52
.LBB24_50:                              ; =>This Inner Loop Header: Depth=1
	v_cmp_lt_f64_e64 s0, v[2:3], v[0:1]
	s_and_b32 s7, vcc_lo, s6
	s_and_not1_b32 s3, s3, exec_lo
	s_or_b32 s1, s1, exec_lo
	s_delay_alu instid0(VALU_DEP_1) | instskip(NEXT) | instid1(SALU_CYCLE_1)
	s_or_b32 s0, s0, s7
	s_and_saveexec_b32 s7, s0
	s_cbranch_execz .LBB24_49
; %bb.51:                               ;   in Loop: Header=BB24_50 Depth=1
	global_atomic_cmpswap_b64 v[5:6], v4, v[0:3], s[4:5] glc
	s_and_not1_b32 s3, s3, exec_lo
	s_and_not1_b32 s1, s1, exec_lo
	s_waitcnt vmcnt(0)
	v_cmp_eq_u64_e64 s0, v[5:6], v[2:3]
	s_delay_alu instid0(VALU_DEP_1) | instskip(SKIP_2) | instid1(SALU_CYCLE_1)
	v_cndmask_b32_e64 v3, v6, v3, s0
	v_cndmask_b32_e64 v2, v5, v2, s0
	s_and_b32 s0, s0, exec_lo
	s_or_b32 s1, s1, s0
	s_delay_alu instid0(VALU_DEP_1) | instskip(SKIP_1) | instid1(VALU_DEP_2)
	v_cmp_class_f64_e64 s6, v[2:3], 32
	v_dual_mov_b32 v2, v5 :: v_dual_mov_b32 v3, v6
	s_and_b32 s6, s6, exec_lo
	s_delay_alu instid0(SALU_CYCLE_1)
	s_or_b32 s3, s3, s6
                                        ; implicit-def: $sgpr6
	s_branch .LBB24_49
.LBB24_52:
	s_set_inst_prefetch_distance 0x2
	s_endpgm
	.section	.rodata,"a",@progbits
	.p2align	6, 0x0
	.amdhsa_kernel _ZN9rocsparseL16kernel_calculateILi1024ELi16ELb1EdiiEEvT4_T3_PKS2_S4_PKS1_PKT2_21rocsparse_index_base_S4_S4_S6_S4_S4_S6_S4_PS7_PNS_15floating_traitsIS7_E6data_tEPKSE_
		.amdhsa_group_segment_fixed_size 512
		.amdhsa_private_segment_fixed_size 0
		.amdhsa_kernarg_size 128
		.amdhsa_user_sgpr_count 15
		.amdhsa_user_sgpr_dispatch_ptr 0
		.amdhsa_user_sgpr_queue_ptr 0
		.amdhsa_user_sgpr_kernarg_segment_ptr 1
		.amdhsa_user_sgpr_dispatch_id 0
		.amdhsa_user_sgpr_private_segment_size 0
		.amdhsa_wavefront_size32 1
		.amdhsa_uses_dynamic_stack 0
		.amdhsa_enable_private_segment 0
		.amdhsa_system_sgpr_workgroup_id_x 1
		.amdhsa_system_sgpr_workgroup_id_y 0
		.amdhsa_system_sgpr_workgroup_id_z 0
		.amdhsa_system_sgpr_workgroup_info 0
		.amdhsa_system_vgpr_workitem_id 0
		.amdhsa_next_free_vgpr 33
		.amdhsa_next_free_sgpr 42
		.amdhsa_reserve_vcc 1
		.amdhsa_float_round_mode_32 0
		.amdhsa_float_round_mode_16_64 0
		.amdhsa_float_denorm_mode_32 3
		.amdhsa_float_denorm_mode_16_64 3
		.amdhsa_dx10_clamp 1
		.amdhsa_ieee_mode 1
		.amdhsa_fp16_overflow 0
		.amdhsa_workgroup_processor_mode 1
		.amdhsa_memory_ordered 1
		.amdhsa_forward_progress 0
		.amdhsa_shared_vgpr_count 0
		.amdhsa_exception_fp_ieee_invalid_op 0
		.amdhsa_exception_fp_denorm_src 0
		.amdhsa_exception_fp_ieee_div_zero 0
		.amdhsa_exception_fp_ieee_overflow 0
		.amdhsa_exception_fp_ieee_underflow 0
		.amdhsa_exception_fp_ieee_inexact 0
		.amdhsa_exception_int_div_zero 0
	.end_amdhsa_kernel
	.section	.text._ZN9rocsparseL16kernel_calculateILi1024ELi16ELb1EdiiEEvT4_T3_PKS2_S4_PKS1_PKT2_21rocsparse_index_base_S4_S4_S6_S4_S4_S6_S4_PS7_PNS_15floating_traitsIS7_E6data_tEPKSE_,"axG",@progbits,_ZN9rocsparseL16kernel_calculateILi1024ELi16ELb1EdiiEEvT4_T3_PKS2_S4_PKS1_PKT2_21rocsparse_index_base_S4_S4_S6_S4_S4_S6_S4_PS7_PNS_15floating_traitsIS7_E6data_tEPKSE_,comdat
.Lfunc_end24:
	.size	_ZN9rocsparseL16kernel_calculateILi1024ELi16ELb1EdiiEEvT4_T3_PKS2_S4_PKS1_PKT2_21rocsparse_index_base_S4_S4_S6_S4_S4_S6_S4_PS7_PNS_15floating_traitsIS7_E6data_tEPKSE_, .Lfunc_end24-_ZN9rocsparseL16kernel_calculateILi1024ELi16ELb1EdiiEEvT4_T3_PKS2_S4_PKS1_PKT2_21rocsparse_index_base_S4_S4_S6_S4_S4_S6_S4_PS7_PNS_15floating_traitsIS7_E6data_tEPKSE_
                                        ; -- End function
	.section	.AMDGPU.csdata,"",@progbits
; Kernel info:
; codeLenInByte = 2896
; NumSgprs: 44
; NumVgprs: 33
; ScratchSize: 0
; MemoryBound: 1
; FloatMode: 240
; IeeeMode: 1
; LDSByteSize: 512 bytes/workgroup (compile time only)
; SGPRBlocks: 5
; VGPRBlocks: 4
; NumSGPRsForWavesPerEU: 44
; NumVGPRsForWavesPerEU: 33
; Occupancy: 16
; WaveLimiterHint : 1
; COMPUTE_PGM_RSRC2:SCRATCH_EN: 0
; COMPUTE_PGM_RSRC2:USER_SGPR: 15
; COMPUTE_PGM_RSRC2:TRAP_HANDLER: 0
; COMPUTE_PGM_RSRC2:TGID_X_EN: 1
; COMPUTE_PGM_RSRC2:TGID_Y_EN: 0
; COMPUTE_PGM_RSRC2:TGID_Z_EN: 0
; COMPUTE_PGM_RSRC2:TIDIG_COMP_CNT: 0
	.section	.text._ZN9rocsparseL16kernel_calculateILi1024ELi32ELb1EdiiEEvT4_T3_PKS2_S4_PKS1_PKT2_21rocsparse_index_base_S4_S4_S6_S4_S4_S6_S4_PS7_PNS_15floating_traitsIS7_E6data_tEPKSE_,"axG",@progbits,_ZN9rocsparseL16kernel_calculateILi1024ELi32ELb1EdiiEEvT4_T3_PKS2_S4_PKS1_PKT2_21rocsparse_index_base_S4_S4_S6_S4_S4_S6_S4_PS7_PNS_15floating_traitsIS7_E6data_tEPKSE_,comdat
	.globl	_ZN9rocsparseL16kernel_calculateILi1024ELi32ELb1EdiiEEvT4_T3_PKS2_S4_PKS1_PKT2_21rocsparse_index_base_S4_S4_S6_S4_S4_S6_S4_PS7_PNS_15floating_traitsIS7_E6data_tEPKSE_ ; -- Begin function _ZN9rocsparseL16kernel_calculateILi1024ELi32ELb1EdiiEEvT4_T3_PKS2_S4_PKS1_PKT2_21rocsparse_index_base_S4_S4_S6_S4_S4_S6_S4_PS7_PNS_15floating_traitsIS7_E6data_tEPKSE_
	.p2align	8
	.type	_ZN9rocsparseL16kernel_calculateILi1024ELi32ELb1EdiiEEvT4_T3_PKS2_S4_PKS1_PKT2_21rocsparse_index_base_S4_S4_S6_S4_S4_S6_S4_PS7_PNS_15floating_traitsIS7_E6data_tEPKSE_,@function
_ZN9rocsparseL16kernel_calculateILi1024ELi32ELb1EdiiEEvT4_T3_PKS2_S4_PKS1_PKT2_21rocsparse_index_base_S4_S4_S6_S4_S4_S6_S4_PS7_PNS_15floating_traitsIS7_E6data_tEPKSE_: ; @_ZN9rocsparseL16kernel_calculateILi1024ELi32ELb1EdiiEEvT4_T3_PKS2_S4_PKS1_PKT2_21rocsparse_index_base_S4_S4_S6_S4_S4_S6_S4_PS7_PNS_15floating_traitsIS7_E6data_tEPKSE_
; %bb.0:
	s_load_b32 s5, s[0:1], 0x0
	v_lshrrev_b32_e32 v25, 5, v0
	v_dual_mov_b32 v1, 0 :: v_dual_and_b32 v26, 31, v0
	v_mov_b32_e32 v2, 0
	s_mov_b32 s6, exec_lo
	s_delay_alu instid0(VALU_DEP_3) | instskip(SKIP_1) | instid1(VALU_DEP_1)
	v_lshl_or_b32 v27, s15, 10, v25
	s_waitcnt lgkmcnt(0)
	v_cmpx_gt_i32_e64 s5, v27
	s_cbranch_execz .LBB25_33
; %bb.1:
	s_clause 0x3
	s_load_b32 s7, s[0:1], 0x28
	s_load_b256 s[8:15], s[0:1], 0x50
	s_load_b256 s[16:23], s[0:1], 0x30
	;; [unrolled: 1-line block ×3, first 2 shown]
	v_mov_b32_e32 v1, 0
	v_mov_b32_e32 v2, 0
	s_mov_b32 s33, 0
	s_waitcnt lgkmcnt(0)
	v_subrev_nc_u32_e32 v28, s7, v26
	s_branch .LBB25_5
.LBB25_2:                               ;   in Loop: Header=BB25_5 Depth=1
	s_or_b32 exec_lo, exec_lo, s36
.LBB25_3:                               ;   in Loop: Header=BB25_5 Depth=1
	s_delay_alu instid0(SALU_CYCLE_1)
	s_or_b32 exec_lo, exec_lo, s35
.LBB25_4:                               ;   in Loop: Header=BB25_5 Depth=1
	s_delay_alu instid0(SALU_CYCLE_1) | instskip(SKIP_1) | instid1(SALU_CYCLE_1)
	s_or_b32 exec_lo, exec_lo, s34
	s_add_i32 s33, s33, 1
	s_cmp_lg_u32 s33, 32
	s_cbranch_scc0 .LBB25_33
.LBB25_5:                               ; =>This Loop Header: Depth=1
                                        ;     Child Loop BB25_9 Depth 2
                                        ;       Child Loop BB25_12 Depth 3
                                        ;       Child Loop BB25_18 Depth 3
                                        ;       Child Loop BB25_26 Depth 3
	v_lshl_add_u32 v3, s33, 5, v27
	s_mov_b32 s34, exec_lo
	s_delay_alu instid0(VALU_DEP_1)
	v_cmpx_gt_i32_e64 s5, v3
	s_cbranch_execz .LBB25_4
; %bb.6:                                ;   in Loop: Header=BB25_5 Depth=1
	v_ashrrev_i32_e32 v4, 31, v3
	s_mov_b32 s35, exec_lo
	s_delay_alu instid0(VALU_DEP_1) | instskip(NEXT) | instid1(VALU_DEP_1)
	v_lshlrev_b64 v[5:6], 2, v[3:4]
	v_add_co_u32 v7, vcc_lo, s26, v5
	s_delay_alu instid0(VALU_DEP_2)
	v_add_co_ci_u32_e32 v8, vcc_lo, s27, v6, vcc_lo
	v_add_co_u32 v9, vcc_lo, s24, v5
	v_add_co_ci_u32_e32 v10, vcc_lo, s25, v6, vcc_lo
	global_load_b32 v4, v[7:8], off
	global_load_b32 v7, v[9:10], off
	s_waitcnt vmcnt(1)
	v_subrev_nc_u32_e32 v29, s7, v4
	s_waitcnt vmcnt(0)
	v_add_nc_u32_e32 v4, v28, v7
	s_delay_alu instid0(VALU_DEP_1)
	v_cmpx_lt_i32_e64 v4, v29
	s_cbranch_execz .LBB25_3
; %bb.7:                                ;   in Loop: Header=BB25_5 Depth=1
	v_add_co_u32 v7, vcc_lo, s18, v5
	v_add_co_ci_u32_e32 v8, vcc_lo, s19, v6, vcc_lo
	v_add_co_u32 v5, vcc_lo, s16, v5
	v_add_co_ci_u32_e32 v6, vcc_lo, s17, v6, vcc_lo
	s_mov_b32 s36, 0
	global_load_b32 v7, v[7:8], off
	global_load_b32 v5, v[5:6], off
	s_waitcnt vmcnt(1)
	v_subrev_nc_u32_e32 v30, s7, v7
	s_waitcnt vmcnt(0)
	v_subrev_nc_u32_e32 v31, s7, v5
	v_cmp_lt_i32_e64 s2, v5, v7
	s_branch .LBB25_9
.LBB25_8:                               ;   in Loop: Header=BB25_9 Depth=2
	s_or_b32 exec_lo, exec_lo, s3
	v_add_f64 v[7:8], v[9:10], v[17:18]
	v_cmp_eq_u32_e32 vcc_lo, v3, v6
	v_add_nc_u32_e32 v4, 32, v4
	s_delay_alu instid0(VALU_DEP_1) | instskip(NEXT) | instid1(VALU_DEP_4)
	v_cmp_ge_i32_e64 s4, v4, v29
	v_dual_cndmask_b32 v6, v18, v8 :: v_dual_cndmask_b32 v5, v17, v7
	s_delay_alu instid0(VALU_DEP_1) | instskip(NEXT) | instid1(VALU_DEP_1)
	v_and_b32_e32 v6, 0x7fffffff, v6
	v_cmp_nlg_f64_e32 vcc_lo, 0x7ff00000, v[5:6]
	v_cmp_gt_f64_e64 s3, v[1:2], v[5:6]
	s_delay_alu instid0(VALU_DEP_1)
	s_or_b32 vcc_lo, vcc_lo, s3
	s_or_b32 s36, s4, s36
	v_dual_cndmask_b32 v1, v5, v1 :: v_dual_cndmask_b32 v2, v6, v2
	s_and_not1_b32 exec_lo, exec_lo, s36
	s_cbranch_execz .LBB25_2
.LBB25_9:                               ;   Parent Loop BB25_5 Depth=1
                                        ; =>  This Loop Header: Depth=2
                                        ;       Child Loop BB25_12 Depth 3
                                        ;       Child Loop BB25_18 Depth 3
	;; [unrolled: 1-line block ×3, first 2 shown]
	v_ashrrev_i32_e32 v5, 31, v4
	s_delay_alu instid0(VALU_DEP_1) | instskip(NEXT) | instid1(VALU_DEP_1)
	v_lshlrev_b64 v[6:7], 2, v[4:5]
	v_add_co_u32 v6, vcc_lo, s28, v6
	s_delay_alu instid0(VALU_DEP_2) | instskip(SKIP_3) | instid1(VALU_DEP_1)
	v_add_co_ci_u32_e32 v7, vcc_lo, s29, v7, vcc_lo
	global_load_b32 v32, v[6:7], off
	s_waitcnt vmcnt(0)
	v_subrev_nc_u32_e32 v6, s7, v32
	v_ashrrev_i32_e32 v7, 31, v6
	s_delay_alu instid0(VALU_DEP_1) | instskip(NEXT) | instid1(VALU_DEP_1)
	v_lshlrev_b64 v[9:10], 2, v[6:7]
	v_add_co_u32 v7, vcc_lo, s18, v9
	s_delay_alu instid0(VALU_DEP_2)
	v_add_co_ci_u32_e32 v8, vcc_lo, s19, v10, vcc_lo
	v_add_co_u32 v13, vcc_lo, s8, v9
	v_add_co_ci_u32_e32 v14, vcc_lo, s9, v10, vcc_lo
	global_load_b32 v11, v[7:8], off
	v_lshlrev_b64 v[7:8], 3, v[4:5]
	v_add_co_u32 v9, vcc_lo, s22, v9
	v_add_co_ci_u32_e32 v10, vcc_lo, s23, v10, vcc_lo
	global_load_b32 v13, v[13:14], off
	global_load_b32 v14, v[9:10], off
	v_add_co_u32 v15, vcc_lo, s30, v7
	v_add_co_ci_u32_e32 v16, vcc_lo, s31, v8, vcc_lo
	s_waitcnt vmcnt(2)
	v_subrev_nc_u32_e32 v11, s7, v11
	s_delay_alu instid0(VALU_DEP_1)
	v_ashrrev_i32_e32 v12, 31, v11
	s_waitcnt vmcnt(1)
	v_subrev_nc_u32_e32 v5, s7, v13
	s_waitcnt vmcnt(0)
	v_subrev_nc_u32_e32 v19, s7, v14
	v_lshlrev_b64 v[11:12], 3, v[11:12]
	s_delay_alu instid0(VALU_DEP_1) | instskip(NEXT) | instid1(VALU_DEP_2)
	v_add_co_u32 v9, vcc_lo, s14, v11
	v_add_co_ci_u32_e32 v10, vcc_lo, s15, v12, vcc_lo
	v_cmp_lt_i32_e32 vcc_lo, v14, v13
	global_load_b64 v[11:12], v[15:16], off
	global_load_b64 v[9:10], v[9:10], off
	v_mov_b32_e32 v13, 0
	v_dual_mov_b32 v14, 0 :: v_dual_mov_b32 v15, v31
	s_and_b32 s3, s2, vcc_lo
	s_delay_alu instid0(SALU_CYCLE_1)
	s_and_saveexec_b32 s4, s3
	s_cbranch_execz .LBB25_15
; %bb.10:                               ;   in Loop: Header=BB25_9 Depth=2
	v_mov_b32_e32 v13, 0
	v_dual_mov_b32 v14, 0 :: v_dual_mov_b32 v15, v31
	s_mov_b32 s37, 0
	s_branch .LBB25_12
.LBB25_11:                              ;   in Loop: Header=BB25_12 Depth=3
	s_or_b32 exec_lo, exec_lo, s3
	v_cmp_le_i32_e32 vcc_lo, v20, v21
	v_add_co_ci_u32_e32 v15, vcc_lo, 0, v15, vcc_lo
	v_cmp_ge_i32_e32 vcc_lo, v20, v21
	v_add_co_ci_u32_e32 v19, vcc_lo, 0, v19, vcc_lo
	s_delay_alu instid0(VALU_DEP_3) | instskip(NEXT) | instid1(VALU_DEP_2)
	v_cmp_ge_i32_e32 vcc_lo, v15, v30
	v_cmp_ge_i32_e64 s3, v19, v5
	s_delay_alu instid0(VALU_DEP_1) | instskip(NEXT) | instid1(SALU_CYCLE_1)
	s_or_b32 s3, vcc_lo, s3
	s_and_b32 s3, exec_lo, s3
	s_delay_alu instid0(SALU_CYCLE_1) | instskip(NEXT) | instid1(SALU_CYCLE_1)
	s_or_b32 s37, s3, s37
	s_and_not1_b32 exec_lo, exec_lo, s37
	s_cbranch_execz .LBB25_14
.LBB25_12:                              ;   Parent Loop BB25_5 Depth=1
                                        ;     Parent Loop BB25_9 Depth=2
                                        ; =>    This Inner Loop Header: Depth=3
	s_delay_alu instid0(VALU_DEP_1) | instskip(SKIP_2) | instid1(VALU_DEP_2)
	v_ashrrev_i32_e32 v16, 31, v15
	v_ashrrev_i32_e32 v20, 31, v19
	s_mov_b32 s3, exec_lo
	v_lshlrev_b64 v[21:22], 2, v[15:16]
	s_delay_alu instid0(VALU_DEP_2) | instskip(NEXT) | instid1(VALU_DEP_2)
	v_lshlrev_b64 v[17:18], 2, v[19:20]
	v_add_co_u32 v20, vcc_lo, s20, v21
	s_delay_alu instid0(VALU_DEP_3) | instskip(NEXT) | instid1(VALU_DEP_3)
	v_add_co_ci_u32_e32 v21, vcc_lo, s21, v22, vcc_lo
	v_add_co_u32 v22, vcc_lo, s10, v17
	s_delay_alu instid0(VALU_DEP_4)
	v_add_co_ci_u32_e32 v23, vcc_lo, s11, v18, vcc_lo
	global_load_b32 v20, v[20:21], off
	global_load_b32 v21, v[22:23], off
	s_waitcnt vmcnt(0)
	v_cmpx_eq_u32_e64 v20, v21
	s_cbranch_execz .LBB25_11
; %bb.13:                               ;   in Loop: Header=BB25_12 Depth=3
	v_add_co_u32 v17, vcc_lo, s12, v17
	v_add_co_ci_u32_e32 v18, vcc_lo, s13, v18, vcc_lo
	v_lshlrev_b64 v[22:23], 3, v[15:16]
	global_load_b32 v17, v[17:18], off
	v_add_co_u32 v22, vcc_lo, s14, v22
	v_add_co_ci_u32_e32 v23, vcc_lo, s15, v23, vcc_lo
	s_waitcnt vmcnt(0)
	v_ashrrev_i32_e32 v18, 31, v17
	s_delay_alu instid0(VALU_DEP_1) | instskip(NEXT) | instid1(VALU_DEP_1)
	v_lshlrev_b64 v[16:17], 3, v[17:18]
	v_add_co_u32 v16, vcc_lo, s14, v16
	s_delay_alu instid0(VALU_DEP_2)
	v_add_co_ci_u32_e32 v17, vcc_lo, s15, v17, vcc_lo
	s_clause 0x1
	global_load_b64 v[22:23], v[22:23], off
	global_load_b64 v[16:17], v[16:17], off
	s_waitcnt vmcnt(0)
	v_fma_f64 v[13:14], v[22:23], v[16:17], v[13:14]
	s_branch .LBB25_11
.LBB25_14:                              ;   in Loop: Header=BB25_9 Depth=2
	s_or_b32 exec_lo, exec_lo, s37
.LBB25_15:                              ;   in Loop: Header=BB25_9 Depth=2
	s_delay_alu instid0(SALU_CYCLE_1)
	s_or_b32 exec_lo, exec_lo, s4
	s_waitcnt vmcnt(1)
	v_add_f64 v[17:18], v[13:14], -v[11:12]
	s_mov_b32 s4, exec_lo
	v_cmpx_lt_i32_e64 v19, v5
	s_cbranch_execz .LBB25_23
; %bb.16:                               ;   in Loop: Header=BB25_9 Depth=2
	v_ashrrev_i32_e32 v20, 31, v19
	s_mov_b32 s37, 0
                                        ; implicit-def: $sgpr38
                                        ; implicit-def: $sgpr40
                                        ; implicit-def: $sgpr39
	s_delay_alu instid0(VALU_DEP_1) | instskip(NEXT) | instid1(VALU_DEP_1)
	v_lshlrev_b64 v[21:22], 2, v[19:20]
	v_add_co_u32 v21, vcc_lo, s10, v21
	s_delay_alu instid0(VALU_DEP_2)
	v_add_co_ci_u32_e32 v22, vcc_lo, s11, v22, vcc_lo
	s_set_inst_prefetch_distance 0x1
	s_branch .LBB25_18
	.p2align	6
.LBB25_17:                              ;   in Loop: Header=BB25_18 Depth=3
	s_or_b32 exec_lo, exec_lo, s41
	s_delay_alu instid0(SALU_CYCLE_1) | instskip(NEXT) | instid1(SALU_CYCLE_1)
	s_and_b32 s3, exec_lo, s40
	s_or_b32 s37, s3, s37
	s_and_not1_b32 s3, s38, exec_lo
	s_and_b32 s38, s39, exec_lo
	s_delay_alu instid0(SALU_CYCLE_1)
	s_or_b32 s38, s3, s38
	s_and_not1_b32 exec_lo, exec_lo, s37
	s_cbranch_execz .LBB25_20
.LBB25_18:                              ;   Parent Loop BB25_5 Depth=1
                                        ;     Parent Loop BB25_9 Depth=2
                                        ; =>    This Inner Loop Header: Depth=3
	global_load_b32 v16, v[21:22], off
	v_dual_mov_b32 v24, v20 :: v_dual_mov_b32 v23, v19
	s_or_b32 s39, s39, exec_lo
	s_or_b32 s40, s40, exec_lo
	s_mov_b32 s41, exec_lo
                                        ; implicit-def: $vgpr19_vgpr20
	s_waitcnt vmcnt(0)
	v_subrev_nc_u32_e32 v16, s7, v16
	s_delay_alu instid0(VALU_DEP_1)
	v_cmpx_ne_u32_e64 v16, v3
	s_cbranch_execz .LBB25_17
; %bb.19:                               ;   in Loop: Header=BB25_18 Depth=3
	v_add_co_u32 v19, vcc_lo, v23, 1
	v_add_co_ci_u32_e32 v20, vcc_lo, 0, v24, vcc_lo
	v_add_co_u32 v21, s3, v21, 4
	s_delay_alu instid0(VALU_DEP_3) | instskip(SKIP_4) | instid1(SALU_CYCLE_1)
	v_cmp_ge_i32_e32 vcc_lo, v19, v5
	v_add_co_ci_u32_e64 v22, s3, 0, v22, s3
	s_and_not1_b32 s3, s40, exec_lo
	s_and_not1_b32 s39, s39, exec_lo
	s_and_b32 s40, vcc_lo, exec_lo
	s_or_b32 s40, s3, s40
	s_branch .LBB25_17
.LBB25_20:                              ;   in Loop: Header=BB25_9 Depth=2
	s_set_inst_prefetch_distance 0x2
	s_or_b32 exec_lo, exec_lo, s37
	s_and_saveexec_b32 s3, s38
	s_delay_alu instid0(SALU_CYCLE_1)
	s_xor_b32 s3, exec_lo, s3
	s_cbranch_execz .LBB25_22
; %bb.21:                               ;   in Loop: Header=BB25_9 Depth=2
	v_lshlrev_b64 v[19:20], 2, v[23:24]
	s_delay_alu instid0(VALU_DEP_1) | instskip(NEXT) | instid1(VALU_DEP_2)
	v_add_co_u32 v19, vcc_lo, s12, v19
	v_add_co_ci_u32_e32 v20, vcc_lo, s13, v20, vcc_lo
	global_load_b32 v19, v[19:20], off
	s_waitcnt vmcnt(0)
	v_ashrrev_i32_e32 v20, 31, v19
	s_delay_alu instid0(VALU_DEP_1) | instskip(NEXT) | instid1(VALU_DEP_1)
	v_lshlrev_b64 v[19:20], 3, v[19:20]
	v_add_co_u32 v19, vcc_lo, s14, v19
	s_delay_alu instid0(VALU_DEP_2)
	v_add_co_ci_u32_e32 v20, vcc_lo, s15, v20, vcc_lo
	global_load_b64 v[19:20], v[19:20], off
	s_waitcnt vmcnt(0)
	v_add_f64 v[17:18], v[17:18], v[19:20]
.LBB25_22:                              ;   in Loop: Header=BB25_9 Depth=2
	s_or_b32 exec_lo, exec_lo, s3
.LBB25_23:                              ;   in Loop: Header=BB25_9 Depth=2
	s_delay_alu instid0(SALU_CYCLE_1) | instskip(NEXT) | instid1(SALU_CYCLE_1)
	s_or_b32 exec_lo, exec_lo, s4
	s_mov_b32 s4, exec_lo
	v_cmpx_lt_i32_e64 v15, v30
	s_cbranch_execz .LBB25_31
; %bb.24:                               ;   in Loop: Header=BB25_9 Depth=2
	v_ashrrev_i32_e32 v16, 31, v15
	s_mov_b32 s37, 0
                                        ; implicit-def: $sgpr38
                                        ; implicit-def: $sgpr40
                                        ; implicit-def: $sgpr39
	s_delay_alu instid0(VALU_DEP_1) | instskip(NEXT) | instid1(VALU_DEP_1)
	v_lshlrev_b64 v[19:20], 2, v[15:16]
	v_add_co_u32 v19, vcc_lo, s20, v19
	s_delay_alu instid0(VALU_DEP_2)
	v_add_co_ci_u32_e32 v20, vcc_lo, s21, v20, vcc_lo
	s_set_inst_prefetch_distance 0x1
	s_branch .LBB25_26
	.p2align	6
.LBB25_25:                              ;   in Loop: Header=BB25_26 Depth=3
	s_or_b32 exec_lo, exec_lo, s41
	s_delay_alu instid0(SALU_CYCLE_1) | instskip(NEXT) | instid1(SALU_CYCLE_1)
	s_and_b32 s3, exec_lo, s40
	s_or_b32 s37, s3, s37
	s_and_not1_b32 s3, s38, exec_lo
	s_and_b32 s38, s39, exec_lo
	s_delay_alu instid0(SALU_CYCLE_1)
	s_or_b32 s38, s3, s38
	s_and_not1_b32 exec_lo, exec_lo, s37
	s_cbranch_execz .LBB25_28
.LBB25_26:                              ;   Parent Loop BB25_5 Depth=1
                                        ;     Parent Loop BB25_9 Depth=2
                                        ; =>    This Inner Loop Header: Depth=3
	global_load_b32 v5, v[19:20], off
	v_dual_mov_b32 v22, v16 :: v_dual_mov_b32 v21, v15
	s_or_b32 s39, s39, exec_lo
	s_or_b32 s40, s40, exec_lo
	s_mov_b32 s41, exec_lo
                                        ; implicit-def: $vgpr15_vgpr16
	s_waitcnt vmcnt(0)
	v_cmpx_ne_u32_e64 v5, v32
	s_cbranch_execz .LBB25_25
; %bb.27:                               ;   in Loop: Header=BB25_26 Depth=3
	v_add_co_u32 v15, vcc_lo, v21, 1
	v_add_co_ci_u32_e32 v16, vcc_lo, 0, v22, vcc_lo
	v_add_co_u32 v19, s3, v19, 4
	s_delay_alu instid0(VALU_DEP_3) | instskip(SKIP_4) | instid1(SALU_CYCLE_1)
	v_cmp_ge_i32_e32 vcc_lo, v15, v30
	v_add_co_ci_u32_e64 v20, s3, 0, v20, s3
	s_and_not1_b32 s3, s40, exec_lo
	s_and_not1_b32 s39, s39, exec_lo
	s_and_b32 s40, vcc_lo, exec_lo
	s_or_b32 s40, s3, s40
	s_branch .LBB25_25
.LBB25_28:                              ;   in Loop: Header=BB25_9 Depth=2
	s_set_inst_prefetch_distance 0x2
	s_or_b32 exec_lo, exec_lo, s37
	s_and_saveexec_b32 s3, s38
	s_delay_alu instid0(SALU_CYCLE_1)
	s_xor_b32 s3, exec_lo, s3
	s_cbranch_execz .LBB25_30
; %bb.29:                               ;   in Loop: Header=BB25_9 Depth=2
	v_lshlrev_b64 v[15:16], 3, v[21:22]
	s_delay_alu instid0(VALU_DEP_1) | instskip(NEXT) | instid1(VALU_DEP_2)
	v_add_co_u32 v15, vcc_lo, s14, v15
	v_add_co_ci_u32_e32 v16, vcc_lo, s15, v16, vcc_lo
	global_load_b64 v[15:16], v[15:16], off
	s_waitcnt vmcnt(0)
	v_fma_f64 v[17:18], v[15:16], v[9:10], v[17:18]
.LBB25_30:                              ;   in Loop: Header=BB25_9 Depth=2
	s_or_b32 exec_lo, exec_lo, s3
.LBB25_31:                              ;   in Loop: Header=BB25_9 Depth=2
	s_delay_alu instid0(SALU_CYCLE_1) | instskip(SKIP_2) | instid1(VALU_DEP_1)
	s_or_b32 exec_lo, exec_lo, s4
	v_add_f64 v[11:12], v[11:12], -v[13:14]
	s_waitcnt vmcnt(0)
	v_div_scale_f64 v[13:14], null, v[9:10], v[9:10], v[11:12]
	v_div_scale_f64 v[21:22], vcc_lo, v[11:12], v[9:10], v[11:12]
	s_delay_alu instid0(VALU_DEP_2) | instskip(SKIP_2) | instid1(VALU_DEP_1)
	v_rcp_f64_e32 v[15:16], v[13:14]
	s_waitcnt_depctr 0xfff
	v_fma_f64 v[19:20], -v[13:14], v[15:16], 1.0
	v_fma_f64 v[15:16], v[15:16], v[19:20], v[15:16]
	s_delay_alu instid0(VALU_DEP_1) | instskip(NEXT) | instid1(VALU_DEP_1)
	v_fma_f64 v[19:20], -v[13:14], v[15:16], 1.0
	v_fma_f64 v[15:16], v[15:16], v[19:20], v[15:16]
	s_delay_alu instid0(VALU_DEP_1) | instskip(NEXT) | instid1(VALU_DEP_1)
	v_mul_f64 v[19:20], v[21:22], v[15:16]
	v_fma_f64 v[13:14], -v[13:14], v[19:20], v[21:22]
	s_delay_alu instid0(VALU_DEP_1) | instskip(SKIP_1) | instid1(VALU_DEP_2)
	v_div_fmas_f64 v[13:14], v[13:14], v[15:16], v[19:20]
	v_cmp_gt_i32_e32 vcc_lo, v3, v6
	v_div_fixup_f64 v[13:14], v[13:14], v[9:10], v[11:12]
	s_delay_alu instid0(VALU_DEP_1) | instskip(NEXT) | instid1(VALU_DEP_1)
	v_dual_cndmask_b32 v12, v12, v14 :: v_dual_cndmask_b32 v11, v11, v13
	v_cmp_class_f64_e64 s4, v[11:12], 0x1f8
	s_delay_alu instid0(VALU_DEP_1)
	s_and_saveexec_b32 s3, s4
	s_cbranch_execz .LBB25_8
; %bb.32:                               ;   in Loop: Header=BB25_9 Depth=2
	v_add_co_u32 v7, vcc_lo, s14, v7
	v_add_co_ci_u32_e32 v8, vcc_lo, s15, v8, vcc_lo
	global_store_b64 v[7:8], v[11:12], off
	s_branch .LBB25_8
.LBB25_33:
	s_or_b32 exec_lo, exec_lo, s6
	v_mbcnt_lo_u32_b32 v5, -1, 0
	s_delay_alu instid0(VALU_DEP_1) | instskip(SKIP_1) | instid1(VALU_DEP_2)
	v_xor_b32_e32 v3, 16, v5
	v_xor_b32_e32 v6, 8, v5
	v_cmp_gt_i32_e32 vcc_lo, 32, v3
	s_delay_alu instid0(VALU_DEP_2) | instskip(NEXT) | instid1(VALU_DEP_1)
	v_cmp_gt_i32_e64 s2, 32, v6
	v_cndmask_b32_e64 v6, v5, v6, s2
	s_delay_alu instid0(VALU_DEP_1) | instskip(NEXT) | instid1(VALU_DEP_1)
	v_dual_cndmask_b32 v3, v5, v3 :: v_dual_lshlrev_b32 v6, 2, v6
	v_lshlrev_b32_e32 v4, 2, v3
	ds_bpermute_b32 v3, v4, v1
	ds_bpermute_b32 v4, v4, v2
	s_waitcnt lgkmcnt(0)
	v_cmp_lt_f64_e32 vcc_lo, v[1:2], v[3:4]
	v_dual_cndmask_b32 v2, v2, v4 :: v_dual_cndmask_b32 v1, v1, v3
	ds_bpermute_b32 v4, v6, v2
	ds_bpermute_b32 v3, v6, v1
	v_xor_b32_e32 v6, 4, v5
	s_delay_alu instid0(VALU_DEP_1) | instskip(NEXT) | instid1(VALU_DEP_1)
	v_cmp_gt_i32_e64 s2, 32, v6
	v_cndmask_b32_e64 v6, v5, v6, s2
	s_waitcnt lgkmcnt(0)
	v_cmp_lt_f64_e32 vcc_lo, v[1:2], v[3:4]
	s_delay_alu instid0(VALU_DEP_2) | instskip(SKIP_4) | instid1(VALU_DEP_1)
	v_dual_cndmask_b32 v1, v1, v3 :: v_dual_lshlrev_b32 v6, 2, v6
	ds_bpermute_b32 v3, v6, v1
	v_cndmask_b32_e32 v2, v2, v4, vcc_lo
	ds_bpermute_b32 v4, v6, v2
	v_xor_b32_e32 v6, 2, v5
	v_cmp_gt_i32_e64 s2, 32, v6
	s_delay_alu instid0(VALU_DEP_1) | instskip(SKIP_2) | instid1(VALU_DEP_2)
	v_cndmask_b32_e64 v6, v5, v6, s2
	s_waitcnt lgkmcnt(0)
	v_cmp_lt_f64_e32 vcc_lo, v[1:2], v[3:4]
	v_dual_cndmask_b32 v1, v1, v3 :: v_dual_lshlrev_b32 v6, 2, v6
	v_cndmask_b32_e32 v2, v2, v4, vcc_lo
	ds_bpermute_b32 v3, v6, v1
	ds_bpermute_b32 v4, v6, v2
	v_xor_b32_e32 v6, 1, v5
	s_delay_alu instid0(VALU_DEP_1) | instskip(NEXT) | instid1(VALU_DEP_1)
	v_cmp_gt_i32_e64 s2, 32, v6
	v_cndmask_b32_e64 v5, v5, v6, s2
	s_mov_b32 s2, exec_lo
	s_delay_alu instid0(VALU_DEP_1)
	v_lshlrev_b32_e32 v5, 2, v5
	s_waitcnt lgkmcnt(0)
	v_cmp_lt_f64_e32 vcc_lo, v[1:2], v[3:4]
	v_dual_cndmask_b32 v2, v2, v4 :: v_dual_cndmask_b32 v1, v1, v3
	ds_bpermute_b32 v4, v5, v2
	ds_bpermute_b32 v3, v5, v1
	v_cmpx_eq_u32_e32 31, v26
	s_cbranch_execz .LBB25_35
; %bb.34:
	s_waitcnt lgkmcnt(0)
	v_cmp_lt_f64_e32 vcc_lo, v[1:2], v[3:4]
	v_dual_cndmask_b32 v2, v2, v4 :: v_dual_lshlrev_b32 v5, 3, v25
	v_cndmask_b32_e32 v1, v1, v3, vcc_lo
	ds_store_b64 v5, v[1:2]
.LBB25_35:
	s_or_b32 exec_lo, exec_lo, s2
	v_lshlrev_b32_e32 v1, 3, v0
	s_mov_b32 s2, exec_lo
	s_waitcnt lgkmcnt(0)
	s_waitcnt_vscnt null, 0x0
	s_barrier
	buffer_gl0_inv
	v_cmpx_gt_u32_e32 16, v0
	s_cbranch_execz .LBB25_37
; %bb.36:
	ds_load_2addr_b64 v[2:5], v1 offset1:16
	s_waitcnt lgkmcnt(0)
	v_cmp_lt_f64_e32 vcc_lo, v[2:3], v[4:5]
	v_dual_cndmask_b32 v3, v3, v5 :: v_dual_cndmask_b32 v2, v2, v4
	ds_store_b64 v1, v[2:3]
.LBB25_37:
	s_or_b32 exec_lo, exec_lo, s2
	s_delay_alu instid0(SALU_CYCLE_1)
	s_mov_b32 s2, exec_lo
	s_waitcnt lgkmcnt(0)
	s_barrier
	buffer_gl0_inv
	v_cmpx_gt_u32_e32 8, v0
	s_cbranch_execz .LBB25_39
; %bb.38:
	ds_load_2addr_b64 v[2:5], v1 offset1:8
	s_waitcnt lgkmcnt(0)
	v_cmp_lt_f64_e32 vcc_lo, v[2:3], v[4:5]
	v_dual_cndmask_b32 v3, v3, v5 :: v_dual_cndmask_b32 v2, v2, v4
	ds_store_b64 v1, v[2:3]
.LBB25_39:
	s_or_b32 exec_lo, exec_lo, s2
	s_delay_alu instid0(SALU_CYCLE_1)
	s_mov_b32 s2, exec_lo
	s_waitcnt lgkmcnt(0)
	;; [unrolled: 15-line block ×3, first 2 shown]
	s_barrier
	buffer_gl0_inv
	v_cmpx_gt_u32_e32 2, v0
	s_cbranch_execz .LBB25_43
; %bb.42:
	ds_load_2addr_b64 v[2:5], v1 offset1:2
	s_waitcnt lgkmcnt(0)
	v_cmp_lt_f64_e32 vcc_lo, v[2:3], v[4:5]
	v_dual_cndmask_b32 v3, v3, v5 :: v_dual_cndmask_b32 v2, v2, v4
	ds_store_b64 v1, v[2:3]
.LBB25_43:
	s_or_b32 exec_lo, exec_lo, s2
	v_cmp_eq_u32_e32 vcc_lo, 0, v0
	s_waitcnt lgkmcnt(0)
	s_barrier
	buffer_gl0_inv
	s_and_saveexec_b32 s3, vcc_lo
	s_cbranch_execz .LBB25_45
; %bb.44:
	v_mov_b32_e32 v4, 0
	ds_load_b128 v[0:3], v4
	s_waitcnt lgkmcnt(0)
	v_cmp_lt_f64_e64 s2, v[0:1], v[2:3]
	s_delay_alu instid0(VALU_DEP_1)
	v_cndmask_b32_e64 v1, v1, v3, s2
	v_cndmask_b32_e64 v0, v0, v2, s2
	ds_store_b64 v4, v[0:1]
.LBB25_45:
	s_or_b32 exec_lo, exec_lo, s3
	s_waitcnt lgkmcnt(0)
	s_barrier
	buffer_gl0_inv
	s_and_saveexec_b32 s2, vcc_lo
	s_cbranch_execz .LBB25_50
; %bb.46:
	s_load_b128 s[4:7], s[0:1], 0x70
	v_mov_b32_e32 v4, 0
	s_brev_b32 s3, 1
	s_mov_b32 s2, 0
	ds_load_b64 v[0:1], v4
	s_waitcnt lgkmcnt(0)
	s_load_b64 s[0:1], s[6:7], 0x0
	global_load_b64 v[2:3], v4, s[4:5] glc
	s_waitcnt lgkmcnt(0)
	v_div_scale_f64 v[5:6], null, s[0:1], s[0:1], v[0:1]
	s_delay_alu instid0(VALU_DEP_1) | instskip(SKIP_2) | instid1(VALU_DEP_1)
	v_rcp_f64_e32 v[7:8], v[5:6]
	s_waitcnt_depctr 0xfff
	v_fma_f64 v[9:10], -v[5:6], v[7:8], 1.0
	v_fma_f64 v[7:8], v[7:8], v[9:10], v[7:8]
	s_delay_alu instid0(VALU_DEP_1) | instskip(NEXT) | instid1(VALU_DEP_1)
	v_fma_f64 v[9:10], -v[5:6], v[7:8], 1.0
	v_fma_f64 v[7:8], v[7:8], v[9:10], v[7:8]
	v_div_scale_f64 v[9:10], vcc_lo, v[0:1], s[0:1], v[0:1]
	s_delay_alu instid0(VALU_DEP_1) | instskip(NEXT) | instid1(VALU_DEP_1)
	v_mul_f64 v[11:12], v[9:10], v[7:8]
	v_fma_f64 v[5:6], -v[5:6], v[11:12], v[9:10]
	s_waitcnt vmcnt(0)
	v_cmp_eq_u64_e64 s6, s[2:3], v[2:3]
                                        ; implicit-def: $sgpr3
	s_delay_alu instid0(VALU_DEP_2) | instskip(NEXT) | instid1(VALU_DEP_1)
	v_div_fmas_f64 v[5:6], v[5:6], v[7:8], v[11:12]
	v_div_fixup_f64 v[0:1], v[5:6], s[0:1], v[0:1]
                                        ; implicit-def: $sgpr1
	s_delay_alu instid0(VALU_DEP_1)
	v_cmp_eq_f64_e32 vcc_lo, 0, v[0:1]
	s_set_inst_prefetch_distance 0x1
	s_branch .LBB25_48
	.p2align	6
.LBB25_47:                              ;   in Loop: Header=BB25_48 Depth=1
	s_or_b32 exec_lo, exec_lo, s7
	s_delay_alu instid0(SALU_CYCLE_1) | instskip(NEXT) | instid1(SALU_CYCLE_1)
	s_and_b32 s0, exec_lo, s1
	s_or_b32 s2, s0, s2
	s_and_not1_b32 s0, s6, exec_lo
	s_and_b32 s6, s3, exec_lo
	s_delay_alu instid0(SALU_CYCLE_1)
	s_or_b32 s6, s0, s6
	s_and_not1_b32 exec_lo, exec_lo, s2
	s_cbranch_execz .LBB25_50
.LBB25_48:                              ; =>This Inner Loop Header: Depth=1
	v_cmp_lt_f64_e64 s0, v[2:3], v[0:1]
	s_and_b32 s7, vcc_lo, s6
	s_and_not1_b32 s3, s3, exec_lo
	s_or_b32 s1, s1, exec_lo
	s_delay_alu instid0(VALU_DEP_1) | instskip(NEXT) | instid1(SALU_CYCLE_1)
	s_or_b32 s0, s0, s7
	s_and_saveexec_b32 s7, s0
	s_cbranch_execz .LBB25_47
; %bb.49:                               ;   in Loop: Header=BB25_48 Depth=1
	global_atomic_cmpswap_b64 v[5:6], v4, v[0:3], s[4:5] glc
	s_and_not1_b32 s3, s3, exec_lo
	s_and_not1_b32 s1, s1, exec_lo
	s_waitcnt vmcnt(0)
	v_cmp_eq_u64_e64 s0, v[5:6], v[2:3]
	s_delay_alu instid0(VALU_DEP_1) | instskip(SKIP_2) | instid1(SALU_CYCLE_1)
	v_cndmask_b32_e64 v3, v6, v3, s0
	v_cndmask_b32_e64 v2, v5, v2, s0
	s_and_b32 s0, s0, exec_lo
	s_or_b32 s1, s1, s0
	s_delay_alu instid0(VALU_DEP_1) | instskip(SKIP_1) | instid1(VALU_DEP_2)
	v_cmp_class_f64_e64 s6, v[2:3], 32
	v_dual_mov_b32 v2, v5 :: v_dual_mov_b32 v3, v6
	s_and_b32 s6, s6, exec_lo
	s_delay_alu instid0(SALU_CYCLE_1)
	s_or_b32 s3, s3, s6
                                        ; implicit-def: $sgpr6
	s_branch .LBB25_47
.LBB25_50:
	s_set_inst_prefetch_distance 0x2
	s_endpgm
	.section	.rodata,"a",@progbits
	.p2align	6, 0x0
	.amdhsa_kernel _ZN9rocsparseL16kernel_calculateILi1024ELi32ELb1EdiiEEvT4_T3_PKS2_S4_PKS1_PKT2_21rocsparse_index_base_S4_S4_S6_S4_S4_S6_S4_PS7_PNS_15floating_traitsIS7_E6data_tEPKSE_
		.amdhsa_group_segment_fixed_size 256
		.amdhsa_private_segment_fixed_size 0
		.amdhsa_kernarg_size 128
		.amdhsa_user_sgpr_count 15
		.amdhsa_user_sgpr_dispatch_ptr 0
		.amdhsa_user_sgpr_queue_ptr 0
		.amdhsa_user_sgpr_kernarg_segment_ptr 1
		.amdhsa_user_sgpr_dispatch_id 0
		.amdhsa_user_sgpr_private_segment_size 0
		.amdhsa_wavefront_size32 1
		.amdhsa_uses_dynamic_stack 0
		.amdhsa_enable_private_segment 0
		.amdhsa_system_sgpr_workgroup_id_x 1
		.amdhsa_system_sgpr_workgroup_id_y 0
		.amdhsa_system_sgpr_workgroup_id_z 0
		.amdhsa_system_sgpr_workgroup_info 0
		.amdhsa_system_vgpr_workitem_id 0
		.amdhsa_next_free_vgpr 33
		.amdhsa_next_free_sgpr 42
		.amdhsa_reserve_vcc 1
		.amdhsa_float_round_mode_32 0
		.amdhsa_float_round_mode_16_64 0
		.amdhsa_float_denorm_mode_32 3
		.amdhsa_float_denorm_mode_16_64 3
		.amdhsa_dx10_clamp 1
		.amdhsa_ieee_mode 1
		.amdhsa_fp16_overflow 0
		.amdhsa_workgroup_processor_mode 1
		.amdhsa_memory_ordered 1
		.amdhsa_forward_progress 0
		.amdhsa_shared_vgpr_count 0
		.amdhsa_exception_fp_ieee_invalid_op 0
		.amdhsa_exception_fp_denorm_src 0
		.amdhsa_exception_fp_ieee_div_zero 0
		.amdhsa_exception_fp_ieee_overflow 0
		.amdhsa_exception_fp_ieee_underflow 0
		.amdhsa_exception_fp_ieee_inexact 0
		.amdhsa_exception_int_div_zero 0
	.end_amdhsa_kernel
	.section	.text._ZN9rocsparseL16kernel_calculateILi1024ELi32ELb1EdiiEEvT4_T3_PKS2_S4_PKS1_PKT2_21rocsparse_index_base_S4_S4_S6_S4_S4_S6_S4_PS7_PNS_15floating_traitsIS7_E6data_tEPKSE_,"axG",@progbits,_ZN9rocsparseL16kernel_calculateILi1024ELi32ELb1EdiiEEvT4_T3_PKS2_S4_PKS1_PKT2_21rocsparse_index_base_S4_S4_S6_S4_S4_S6_S4_PS7_PNS_15floating_traitsIS7_E6data_tEPKSE_,comdat
.Lfunc_end25:
	.size	_ZN9rocsparseL16kernel_calculateILi1024ELi32ELb1EdiiEEvT4_T3_PKS2_S4_PKS1_PKT2_21rocsparse_index_base_S4_S4_S6_S4_S4_S6_S4_PS7_PNS_15floating_traitsIS7_E6data_tEPKSE_, .Lfunc_end25-_ZN9rocsparseL16kernel_calculateILi1024ELi32ELb1EdiiEEvT4_T3_PKS2_S4_PKS1_PKT2_21rocsparse_index_base_S4_S4_S6_S4_S4_S6_S4_PS7_PNS_15floating_traitsIS7_E6data_tEPKSE_
                                        ; -- End function
	.section	.AMDGPU.csdata,"",@progbits
; Kernel info:
; codeLenInByte = 2892
; NumSgprs: 44
; NumVgprs: 33
; ScratchSize: 0
; MemoryBound: 1
; FloatMode: 240
; IeeeMode: 1
; LDSByteSize: 256 bytes/workgroup (compile time only)
; SGPRBlocks: 5
; VGPRBlocks: 4
; NumSGPRsForWavesPerEU: 44
; NumVGPRsForWavesPerEU: 33
; Occupancy: 16
; WaveLimiterHint : 1
; COMPUTE_PGM_RSRC2:SCRATCH_EN: 0
; COMPUTE_PGM_RSRC2:USER_SGPR: 15
; COMPUTE_PGM_RSRC2:TRAP_HANDLER: 0
; COMPUTE_PGM_RSRC2:TGID_X_EN: 1
; COMPUTE_PGM_RSRC2:TGID_Y_EN: 0
; COMPUTE_PGM_RSRC2:TGID_Z_EN: 0
; COMPUTE_PGM_RSRC2:TIDIG_COMP_CNT: 0
	.section	.text._ZN9rocsparseL16kernel_calculateILi1024ELi64ELb1EdiiEEvT4_T3_PKS2_S4_PKS1_PKT2_21rocsparse_index_base_S4_S4_S6_S4_S4_S6_S4_PS7_PNS_15floating_traitsIS7_E6data_tEPKSE_,"axG",@progbits,_ZN9rocsparseL16kernel_calculateILi1024ELi64ELb1EdiiEEvT4_T3_PKS2_S4_PKS1_PKT2_21rocsparse_index_base_S4_S4_S6_S4_S4_S6_S4_PS7_PNS_15floating_traitsIS7_E6data_tEPKSE_,comdat
	.globl	_ZN9rocsparseL16kernel_calculateILi1024ELi64ELb1EdiiEEvT4_T3_PKS2_S4_PKS1_PKT2_21rocsparse_index_base_S4_S4_S6_S4_S4_S6_S4_PS7_PNS_15floating_traitsIS7_E6data_tEPKSE_ ; -- Begin function _ZN9rocsparseL16kernel_calculateILi1024ELi64ELb1EdiiEEvT4_T3_PKS2_S4_PKS1_PKT2_21rocsparse_index_base_S4_S4_S6_S4_S4_S6_S4_PS7_PNS_15floating_traitsIS7_E6data_tEPKSE_
	.p2align	8
	.type	_ZN9rocsparseL16kernel_calculateILi1024ELi64ELb1EdiiEEvT4_T3_PKS2_S4_PKS1_PKT2_21rocsparse_index_base_S4_S4_S6_S4_S4_S6_S4_PS7_PNS_15floating_traitsIS7_E6data_tEPKSE_,@function
_ZN9rocsparseL16kernel_calculateILi1024ELi64ELb1EdiiEEvT4_T3_PKS2_S4_PKS1_PKT2_21rocsparse_index_base_S4_S4_S6_S4_S4_S6_S4_PS7_PNS_15floating_traitsIS7_E6data_tEPKSE_: ; @_ZN9rocsparseL16kernel_calculateILi1024ELi64ELb1EdiiEEvT4_T3_PKS2_S4_PKS1_PKT2_21rocsparse_index_base_S4_S4_S6_S4_S4_S6_S4_PS7_PNS_15floating_traitsIS7_E6data_tEPKSE_
; %bb.0:
	s_load_b32 s5, s[0:1], 0x0
	v_lshrrev_b32_e32 v25, 6, v0
	v_dual_mov_b32 v1, 0 :: v_dual_and_b32 v26, 63, v0
	v_mov_b32_e32 v2, 0
	s_mov_b32 s6, exec_lo
	s_delay_alu instid0(VALU_DEP_3) | instskip(SKIP_1) | instid1(VALU_DEP_1)
	v_lshl_or_b32 v27, s15, 10, v25
	s_waitcnt lgkmcnt(0)
	v_cmpx_gt_i32_e64 s5, v27
	s_cbranch_execz .LBB26_33
; %bb.1:
	s_clause 0x3
	s_load_b32 s7, s[0:1], 0x28
	s_load_b256 s[8:15], s[0:1], 0x50
	s_load_b256 s[16:23], s[0:1], 0x30
	;; [unrolled: 1-line block ×3, first 2 shown]
	v_mov_b32_e32 v1, 0
	v_mov_b32_e32 v2, 0
	s_mov_b32 s33, 0
	s_waitcnt lgkmcnt(0)
	v_subrev_nc_u32_e32 v28, s7, v26
	s_branch .LBB26_5
.LBB26_2:                               ;   in Loop: Header=BB26_5 Depth=1
	s_or_b32 exec_lo, exec_lo, s36
.LBB26_3:                               ;   in Loop: Header=BB26_5 Depth=1
	s_delay_alu instid0(SALU_CYCLE_1)
	s_or_b32 exec_lo, exec_lo, s35
.LBB26_4:                               ;   in Loop: Header=BB26_5 Depth=1
	s_delay_alu instid0(SALU_CYCLE_1) | instskip(SKIP_1) | instid1(SALU_CYCLE_1)
	s_or_b32 exec_lo, exec_lo, s34
	s_add_i32 s33, s33, 1
	s_cmp_lg_u32 s33, 64
	s_cbranch_scc0 .LBB26_33
.LBB26_5:                               ; =>This Loop Header: Depth=1
                                        ;     Child Loop BB26_9 Depth 2
                                        ;       Child Loop BB26_12 Depth 3
                                        ;       Child Loop BB26_18 Depth 3
                                        ;       Child Loop BB26_26 Depth 3
	v_lshl_add_u32 v3, s33, 4, v27
	s_mov_b32 s34, exec_lo
	s_delay_alu instid0(VALU_DEP_1)
	v_cmpx_gt_i32_e64 s5, v3
	s_cbranch_execz .LBB26_4
; %bb.6:                                ;   in Loop: Header=BB26_5 Depth=1
	v_ashrrev_i32_e32 v4, 31, v3
	s_mov_b32 s35, exec_lo
	s_delay_alu instid0(VALU_DEP_1) | instskip(NEXT) | instid1(VALU_DEP_1)
	v_lshlrev_b64 v[5:6], 2, v[3:4]
	v_add_co_u32 v7, vcc_lo, s26, v5
	s_delay_alu instid0(VALU_DEP_2)
	v_add_co_ci_u32_e32 v8, vcc_lo, s27, v6, vcc_lo
	v_add_co_u32 v9, vcc_lo, s24, v5
	v_add_co_ci_u32_e32 v10, vcc_lo, s25, v6, vcc_lo
	global_load_b32 v4, v[7:8], off
	global_load_b32 v7, v[9:10], off
	s_waitcnt vmcnt(1)
	v_subrev_nc_u32_e32 v29, s7, v4
	s_waitcnt vmcnt(0)
	v_add_nc_u32_e32 v4, v28, v7
	s_delay_alu instid0(VALU_DEP_1)
	v_cmpx_lt_i32_e64 v4, v29
	s_cbranch_execz .LBB26_3
; %bb.7:                                ;   in Loop: Header=BB26_5 Depth=1
	v_add_co_u32 v7, vcc_lo, s18, v5
	v_add_co_ci_u32_e32 v8, vcc_lo, s19, v6, vcc_lo
	v_add_co_u32 v5, vcc_lo, s16, v5
	v_add_co_ci_u32_e32 v6, vcc_lo, s17, v6, vcc_lo
	s_mov_b32 s36, 0
	global_load_b32 v7, v[7:8], off
	global_load_b32 v5, v[5:6], off
	s_waitcnt vmcnt(1)
	v_subrev_nc_u32_e32 v30, s7, v7
	s_waitcnt vmcnt(0)
	v_subrev_nc_u32_e32 v31, s7, v5
	v_cmp_lt_i32_e64 s2, v5, v7
	s_branch .LBB26_9
.LBB26_8:                               ;   in Loop: Header=BB26_9 Depth=2
	s_or_b32 exec_lo, exec_lo, s3
	v_add_f64 v[7:8], v[9:10], v[17:18]
	v_cmp_eq_u32_e32 vcc_lo, v3, v6
	v_add_nc_u32_e32 v4, 64, v4
	s_delay_alu instid0(VALU_DEP_1) | instskip(NEXT) | instid1(VALU_DEP_4)
	v_cmp_ge_i32_e64 s4, v4, v29
	v_dual_cndmask_b32 v6, v18, v8 :: v_dual_cndmask_b32 v5, v17, v7
	s_delay_alu instid0(VALU_DEP_1) | instskip(NEXT) | instid1(VALU_DEP_1)
	v_and_b32_e32 v6, 0x7fffffff, v6
	v_cmp_nlg_f64_e32 vcc_lo, 0x7ff00000, v[5:6]
	v_cmp_gt_f64_e64 s3, v[1:2], v[5:6]
	s_delay_alu instid0(VALU_DEP_1)
	s_or_b32 vcc_lo, vcc_lo, s3
	s_or_b32 s36, s4, s36
	v_dual_cndmask_b32 v1, v5, v1 :: v_dual_cndmask_b32 v2, v6, v2
	s_and_not1_b32 exec_lo, exec_lo, s36
	s_cbranch_execz .LBB26_2
.LBB26_9:                               ;   Parent Loop BB26_5 Depth=1
                                        ; =>  This Loop Header: Depth=2
                                        ;       Child Loop BB26_12 Depth 3
                                        ;       Child Loop BB26_18 Depth 3
	;; [unrolled: 1-line block ×3, first 2 shown]
	v_ashrrev_i32_e32 v5, 31, v4
	s_delay_alu instid0(VALU_DEP_1) | instskip(NEXT) | instid1(VALU_DEP_1)
	v_lshlrev_b64 v[6:7], 2, v[4:5]
	v_add_co_u32 v6, vcc_lo, s28, v6
	s_delay_alu instid0(VALU_DEP_2) | instskip(SKIP_3) | instid1(VALU_DEP_1)
	v_add_co_ci_u32_e32 v7, vcc_lo, s29, v7, vcc_lo
	global_load_b32 v32, v[6:7], off
	s_waitcnt vmcnt(0)
	v_subrev_nc_u32_e32 v6, s7, v32
	v_ashrrev_i32_e32 v7, 31, v6
	s_delay_alu instid0(VALU_DEP_1) | instskip(NEXT) | instid1(VALU_DEP_1)
	v_lshlrev_b64 v[9:10], 2, v[6:7]
	v_add_co_u32 v7, vcc_lo, s18, v9
	s_delay_alu instid0(VALU_DEP_2)
	v_add_co_ci_u32_e32 v8, vcc_lo, s19, v10, vcc_lo
	v_add_co_u32 v13, vcc_lo, s8, v9
	v_add_co_ci_u32_e32 v14, vcc_lo, s9, v10, vcc_lo
	global_load_b32 v11, v[7:8], off
	v_lshlrev_b64 v[7:8], 3, v[4:5]
	v_add_co_u32 v9, vcc_lo, s22, v9
	v_add_co_ci_u32_e32 v10, vcc_lo, s23, v10, vcc_lo
	global_load_b32 v13, v[13:14], off
	global_load_b32 v14, v[9:10], off
	v_add_co_u32 v15, vcc_lo, s30, v7
	v_add_co_ci_u32_e32 v16, vcc_lo, s31, v8, vcc_lo
	s_waitcnt vmcnt(2)
	v_subrev_nc_u32_e32 v11, s7, v11
	s_delay_alu instid0(VALU_DEP_1)
	v_ashrrev_i32_e32 v12, 31, v11
	s_waitcnt vmcnt(1)
	v_subrev_nc_u32_e32 v5, s7, v13
	s_waitcnt vmcnt(0)
	v_subrev_nc_u32_e32 v19, s7, v14
	v_lshlrev_b64 v[11:12], 3, v[11:12]
	s_delay_alu instid0(VALU_DEP_1) | instskip(NEXT) | instid1(VALU_DEP_2)
	v_add_co_u32 v9, vcc_lo, s14, v11
	v_add_co_ci_u32_e32 v10, vcc_lo, s15, v12, vcc_lo
	v_cmp_lt_i32_e32 vcc_lo, v14, v13
	global_load_b64 v[11:12], v[15:16], off
	global_load_b64 v[9:10], v[9:10], off
	v_mov_b32_e32 v13, 0
	v_dual_mov_b32 v14, 0 :: v_dual_mov_b32 v15, v31
	s_and_b32 s3, s2, vcc_lo
	s_delay_alu instid0(SALU_CYCLE_1)
	s_and_saveexec_b32 s4, s3
	s_cbranch_execz .LBB26_15
; %bb.10:                               ;   in Loop: Header=BB26_9 Depth=2
	v_mov_b32_e32 v13, 0
	v_dual_mov_b32 v14, 0 :: v_dual_mov_b32 v15, v31
	s_mov_b32 s37, 0
	s_branch .LBB26_12
.LBB26_11:                              ;   in Loop: Header=BB26_12 Depth=3
	s_or_b32 exec_lo, exec_lo, s3
	v_cmp_le_i32_e32 vcc_lo, v20, v21
	v_add_co_ci_u32_e32 v15, vcc_lo, 0, v15, vcc_lo
	v_cmp_ge_i32_e32 vcc_lo, v20, v21
	v_add_co_ci_u32_e32 v19, vcc_lo, 0, v19, vcc_lo
	s_delay_alu instid0(VALU_DEP_3) | instskip(NEXT) | instid1(VALU_DEP_2)
	v_cmp_ge_i32_e32 vcc_lo, v15, v30
	v_cmp_ge_i32_e64 s3, v19, v5
	s_delay_alu instid0(VALU_DEP_1) | instskip(NEXT) | instid1(SALU_CYCLE_1)
	s_or_b32 s3, vcc_lo, s3
	s_and_b32 s3, exec_lo, s3
	s_delay_alu instid0(SALU_CYCLE_1) | instskip(NEXT) | instid1(SALU_CYCLE_1)
	s_or_b32 s37, s3, s37
	s_and_not1_b32 exec_lo, exec_lo, s37
	s_cbranch_execz .LBB26_14
.LBB26_12:                              ;   Parent Loop BB26_5 Depth=1
                                        ;     Parent Loop BB26_9 Depth=2
                                        ; =>    This Inner Loop Header: Depth=3
	s_delay_alu instid0(VALU_DEP_1) | instskip(SKIP_2) | instid1(VALU_DEP_2)
	v_ashrrev_i32_e32 v16, 31, v15
	v_ashrrev_i32_e32 v20, 31, v19
	s_mov_b32 s3, exec_lo
	v_lshlrev_b64 v[21:22], 2, v[15:16]
	s_delay_alu instid0(VALU_DEP_2) | instskip(NEXT) | instid1(VALU_DEP_2)
	v_lshlrev_b64 v[17:18], 2, v[19:20]
	v_add_co_u32 v20, vcc_lo, s20, v21
	s_delay_alu instid0(VALU_DEP_3) | instskip(NEXT) | instid1(VALU_DEP_3)
	v_add_co_ci_u32_e32 v21, vcc_lo, s21, v22, vcc_lo
	v_add_co_u32 v22, vcc_lo, s10, v17
	s_delay_alu instid0(VALU_DEP_4)
	v_add_co_ci_u32_e32 v23, vcc_lo, s11, v18, vcc_lo
	global_load_b32 v20, v[20:21], off
	global_load_b32 v21, v[22:23], off
	s_waitcnt vmcnt(0)
	v_cmpx_eq_u32_e64 v20, v21
	s_cbranch_execz .LBB26_11
; %bb.13:                               ;   in Loop: Header=BB26_12 Depth=3
	v_add_co_u32 v17, vcc_lo, s12, v17
	v_add_co_ci_u32_e32 v18, vcc_lo, s13, v18, vcc_lo
	v_lshlrev_b64 v[22:23], 3, v[15:16]
	global_load_b32 v17, v[17:18], off
	v_add_co_u32 v22, vcc_lo, s14, v22
	v_add_co_ci_u32_e32 v23, vcc_lo, s15, v23, vcc_lo
	s_waitcnt vmcnt(0)
	v_ashrrev_i32_e32 v18, 31, v17
	s_delay_alu instid0(VALU_DEP_1) | instskip(NEXT) | instid1(VALU_DEP_1)
	v_lshlrev_b64 v[16:17], 3, v[17:18]
	v_add_co_u32 v16, vcc_lo, s14, v16
	s_delay_alu instid0(VALU_DEP_2)
	v_add_co_ci_u32_e32 v17, vcc_lo, s15, v17, vcc_lo
	s_clause 0x1
	global_load_b64 v[22:23], v[22:23], off
	global_load_b64 v[16:17], v[16:17], off
	s_waitcnt vmcnt(0)
	v_fma_f64 v[13:14], v[22:23], v[16:17], v[13:14]
	s_branch .LBB26_11
.LBB26_14:                              ;   in Loop: Header=BB26_9 Depth=2
	s_or_b32 exec_lo, exec_lo, s37
.LBB26_15:                              ;   in Loop: Header=BB26_9 Depth=2
	s_delay_alu instid0(SALU_CYCLE_1)
	s_or_b32 exec_lo, exec_lo, s4
	s_waitcnt vmcnt(1)
	v_add_f64 v[17:18], v[13:14], -v[11:12]
	s_mov_b32 s4, exec_lo
	v_cmpx_lt_i32_e64 v19, v5
	s_cbranch_execz .LBB26_23
; %bb.16:                               ;   in Loop: Header=BB26_9 Depth=2
	v_ashrrev_i32_e32 v20, 31, v19
	s_mov_b32 s37, 0
                                        ; implicit-def: $sgpr38
                                        ; implicit-def: $sgpr40
                                        ; implicit-def: $sgpr39
	s_delay_alu instid0(VALU_DEP_1) | instskip(NEXT) | instid1(VALU_DEP_1)
	v_lshlrev_b64 v[21:22], 2, v[19:20]
	v_add_co_u32 v21, vcc_lo, s10, v21
	s_delay_alu instid0(VALU_DEP_2)
	v_add_co_ci_u32_e32 v22, vcc_lo, s11, v22, vcc_lo
	s_set_inst_prefetch_distance 0x1
	s_branch .LBB26_18
	.p2align	6
.LBB26_17:                              ;   in Loop: Header=BB26_18 Depth=3
	s_or_b32 exec_lo, exec_lo, s41
	s_delay_alu instid0(SALU_CYCLE_1) | instskip(NEXT) | instid1(SALU_CYCLE_1)
	s_and_b32 s3, exec_lo, s40
	s_or_b32 s37, s3, s37
	s_and_not1_b32 s3, s38, exec_lo
	s_and_b32 s38, s39, exec_lo
	s_delay_alu instid0(SALU_CYCLE_1)
	s_or_b32 s38, s3, s38
	s_and_not1_b32 exec_lo, exec_lo, s37
	s_cbranch_execz .LBB26_20
.LBB26_18:                              ;   Parent Loop BB26_5 Depth=1
                                        ;     Parent Loop BB26_9 Depth=2
                                        ; =>    This Inner Loop Header: Depth=3
	global_load_b32 v16, v[21:22], off
	v_dual_mov_b32 v24, v20 :: v_dual_mov_b32 v23, v19
	s_or_b32 s39, s39, exec_lo
	s_or_b32 s40, s40, exec_lo
	s_mov_b32 s41, exec_lo
                                        ; implicit-def: $vgpr19_vgpr20
	s_waitcnt vmcnt(0)
	v_subrev_nc_u32_e32 v16, s7, v16
	s_delay_alu instid0(VALU_DEP_1)
	v_cmpx_ne_u32_e64 v16, v3
	s_cbranch_execz .LBB26_17
; %bb.19:                               ;   in Loop: Header=BB26_18 Depth=3
	v_add_co_u32 v19, vcc_lo, v23, 1
	v_add_co_ci_u32_e32 v20, vcc_lo, 0, v24, vcc_lo
	v_add_co_u32 v21, s3, v21, 4
	s_delay_alu instid0(VALU_DEP_3) | instskip(SKIP_4) | instid1(SALU_CYCLE_1)
	v_cmp_ge_i32_e32 vcc_lo, v19, v5
	v_add_co_ci_u32_e64 v22, s3, 0, v22, s3
	s_and_not1_b32 s3, s40, exec_lo
	s_and_not1_b32 s39, s39, exec_lo
	s_and_b32 s40, vcc_lo, exec_lo
	s_or_b32 s40, s3, s40
	s_branch .LBB26_17
.LBB26_20:                              ;   in Loop: Header=BB26_9 Depth=2
	s_set_inst_prefetch_distance 0x2
	s_or_b32 exec_lo, exec_lo, s37
	s_and_saveexec_b32 s3, s38
	s_delay_alu instid0(SALU_CYCLE_1)
	s_xor_b32 s3, exec_lo, s3
	s_cbranch_execz .LBB26_22
; %bb.21:                               ;   in Loop: Header=BB26_9 Depth=2
	v_lshlrev_b64 v[19:20], 2, v[23:24]
	s_delay_alu instid0(VALU_DEP_1) | instskip(NEXT) | instid1(VALU_DEP_2)
	v_add_co_u32 v19, vcc_lo, s12, v19
	v_add_co_ci_u32_e32 v20, vcc_lo, s13, v20, vcc_lo
	global_load_b32 v19, v[19:20], off
	s_waitcnt vmcnt(0)
	v_ashrrev_i32_e32 v20, 31, v19
	s_delay_alu instid0(VALU_DEP_1) | instskip(NEXT) | instid1(VALU_DEP_1)
	v_lshlrev_b64 v[19:20], 3, v[19:20]
	v_add_co_u32 v19, vcc_lo, s14, v19
	s_delay_alu instid0(VALU_DEP_2)
	v_add_co_ci_u32_e32 v20, vcc_lo, s15, v20, vcc_lo
	global_load_b64 v[19:20], v[19:20], off
	s_waitcnt vmcnt(0)
	v_add_f64 v[17:18], v[17:18], v[19:20]
.LBB26_22:                              ;   in Loop: Header=BB26_9 Depth=2
	s_or_b32 exec_lo, exec_lo, s3
.LBB26_23:                              ;   in Loop: Header=BB26_9 Depth=2
	s_delay_alu instid0(SALU_CYCLE_1) | instskip(NEXT) | instid1(SALU_CYCLE_1)
	s_or_b32 exec_lo, exec_lo, s4
	s_mov_b32 s4, exec_lo
	v_cmpx_lt_i32_e64 v15, v30
	s_cbranch_execz .LBB26_31
; %bb.24:                               ;   in Loop: Header=BB26_9 Depth=2
	v_ashrrev_i32_e32 v16, 31, v15
	s_mov_b32 s37, 0
                                        ; implicit-def: $sgpr38
                                        ; implicit-def: $sgpr40
                                        ; implicit-def: $sgpr39
	s_delay_alu instid0(VALU_DEP_1) | instskip(NEXT) | instid1(VALU_DEP_1)
	v_lshlrev_b64 v[19:20], 2, v[15:16]
	v_add_co_u32 v19, vcc_lo, s20, v19
	s_delay_alu instid0(VALU_DEP_2)
	v_add_co_ci_u32_e32 v20, vcc_lo, s21, v20, vcc_lo
	s_set_inst_prefetch_distance 0x1
	s_branch .LBB26_26
	.p2align	6
.LBB26_25:                              ;   in Loop: Header=BB26_26 Depth=3
	s_or_b32 exec_lo, exec_lo, s41
	s_delay_alu instid0(SALU_CYCLE_1) | instskip(NEXT) | instid1(SALU_CYCLE_1)
	s_and_b32 s3, exec_lo, s40
	s_or_b32 s37, s3, s37
	s_and_not1_b32 s3, s38, exec_lo
	s_and_b32 s38, s39, exec_lo
	s_delay_alu instid0(SALU_CYCLE_1)
	s_or_b32 s38, s3, s38
	s_and_not1_b32 exec_lo, exec_lo, s37
	s_cbranch_execz .LBB26_28
.LBB26_26:                              ;   Parent Loop BB26_5 Depth=1
                                        ;     Parent Loop BB26_9 Depth=2
                                        ; =>    This Inner Loop Header: Depth=3
	global_load_b32 v5, v[19:20], off
	v_dual_mov_b32 v22, v16 :: v_dual_mov_b32 v21, v15
	s_or_b32 s39, s39, exec_lo
	s_or_b32 s40, s40, exec_lo
	s_mov_b32 s41, exec_lo
                                        ; implicit-def: $vgpr15_vgpr16
	s_waitcnt vmcnt(0)
	v_cmpx_ne_u32_e64 v5, v32
	s_cbranch_execz .LBB26_25
; %bb.27:                               ;   in Loop: Header=BB26_26 Depth=3
	v_add_co_u32 v15, vcc_lo, v21, 1
	v_add_co_ci_u32_e32 v16, vcc_lo, 0, v22, vcc_lo
	v_add_co_u32 v19, s3, v19, 4
	s_delay_alu instid0(VALU_DEP_3) | instskip(SKIP_4) | instid1(SALU_CYCLE_1)
	v_cmp_ge_i32_e32 vcc_lo, v15, v30
	v_add_co_ci_u32_e64 v20, s3, 0, v20, s3
	s_and_not1_b32 s3, s40, exec_lo
	s_and_not1_b32 s39, s39, exec_lo
	s_and_b32 s40, vcc_lo, exec_lo
	s_or_b32 s40, s3, s40
	s_branch .LBB26_25
.LBB26_28:                              ;   in Loop: Header=BB26_9 Depth=2
	s_set_inst_prefetch_distance 0x2
	s_or_b32 exec_lo, exec_lo, s37
	s_and_saveexec_b32 s3, s38
	s_delay_alu instid0(SALU_CYCLE_1)
	s_xor_b32 s3, exec_lo, s3
	s_cbranch_execz .LBB26_30
; %bb.29:                               ;   in Loop: Header=BB26_9 Depth=2
	v_lshlrev_b64 v[15:16], 3, v[21:22]
	s_delay_alu instid0(VALU_DEP_1) | instskip(NEXT) | instid1(VALU_DEP_2)
	v_add_co_u32 v15, vcc_lo, s14, v15
	v_add_co_ci_u32_e32 v16, vcc_lo, s15, v16, vcc_lo
	global_load_b64 v[15:16], v[15:16], off
	s_waitcnt vmcnt(0)
	v_fma_f64 v[17:18], v[15:16], v[9:10], v[17:18]
.LBB26_30:                              ;   in Loop: Header=BB26_9 Depth=2
	s_or_b32 exec_lo, exec_lo, s3
.LBB26_31:                              ;   in Loop: Header=BB26_9 Depth=2
	s_delay_alu instid0(SALU_CYCLE_1) | instskip(SKIP_2) | instid1(VALU_DEP_1)
	s_or_b32 exec_lo, exec_lo, s4
	v_add_f64 v[11:12], v[11:12], -v[13:14]
	s_waitcnt vmcnt(0)
	v_div_scale_f64 v[13:14], null, v[9:10], v[9:10], v[11:12]
	v_div_scale_f64 v[21:22], vcc_lo, v[11:12], v[9:10], v[11:12]
	s_delay_alu instid0(VALU_DEP_2) | instskip(SKIP_2) | instid1(VALU_DEP_1)
	v_rcp_f64_e32 v[15:16], v[13:14]
	s_waitcnt_depctr 0xfff
	v_fma_f64 v[19:20], -v[13:14], v[15:16], 1.0
	v_fma_f64 v[15:16], v[15:16], v[19:20], v[15:16]
	s_delay_alu instid0(VALU_DEP_1) | instskip(NEXT) | instid1(VALU_DEP_1)
	v_fma_f64 v[19:20], -v[13:14], v[15:16], 1.0
	v_fma_f64 v[15:16], v[15:16], v[19:20], v[15:16]
	s_delay_alu instid0(VALU_DEP_1) | instskip(NEXT) | instid1(VALU_DEP_1)
	v_mul_f64 v[19:20], v[21:22], v[15:16]
	v_fma_f64 v[13:14], -v[13:14], v[19:20], v[21:22]
	s_delay_alu instid0(VALU_DEP_1) | instskip(SKIP_1) | instid1(VALU_DEP_2)
	v_div_fmas_f64 v[13:14], v[13:14], v[15:16], v[19:20]
	v_cmp_gt_i32_e32 vcc_lo, v3, v6
	v_div_fixup_f64 v[13:14], v[13:14], v[9:10], v[11:12]
	s_delay_alu instid0(VALU_DEP_1) | instskip(NEXT) | instid1(VALU_DEP_1)
	v_dual_cndmask_b32 v12, v12, v14 :: v_dual_cndmask_b32 v11, v11, v13
	v_cmp_class_f64_e64 s4, v[11:12], 0x1f8
	s_delay_alu instid0(VALU_DEP_1)
	s_and_saveexec_b32 s3, s4
	s_cbranch_execz .LBB26_8
; %bb.32:                               ;   in Loop: Header=BB26_9 Depth=2
	v_add_co_u32 v7, vcc_lo, s14, v7
	v_add_co_ci_u32_e32 v8, vcc_lo, s15, v8, vcc_lo
	global_store_b64 v[7:8], v[11:12], off
	s_branch .LBB26_8
.LBB26_33:
	s_or_b32 exec_lo, exec_lo, s6
	v_mbcnt_lo_u32_b32 v5, -1, 0
	s_delay_alu instid0(VALU_DEP_1) | instskip(SKIP_1) | instid1(VALU_DEP_2)
	v_or_b32_e32 v3, 32, v5
	v_xor_b32_e32 v6, 16, v5
	v_cmp_gt_i32_e32 vcc_lo, 32, v3
	s_delay_alu instid0(VALU_DEP_2) | instskip(NEXT) | instid1(VALU_DEP_1)
	v_cmp_gt_i32_e64 s2, 32, v6
	v_cndmask_b32_e64 v6, v5, v6, s2
	s_delay_alu instid0(VALU_DEP_1) | instskip(NEXT) | instid1(VALU_DEP_1)
	v_dual_cndmask_b32 v3, v5, v3 :: v_dual_lshlrev_b32 v6, 2, v6
	v_lshlrev_b32_e32 v4, 2, v3
	ds_bpermute_b32 v3, v4, v1
	ds_bpermute_b32 v4, v4, v2
	s_waitcnt lgkmcnt(0)
	v_cmp_lt_f64_e32 vcc_lo, v[1:2], v[3:4]
	v_dual_cndmask_b32 v2, v2, v4 :: v_dual_cndmask_b32 v1, v1, v3
	ds_bpermute_b32 v4, v6, v2
	ds_bpermute_b32 v3, v6, v1
	v_xor_b32_e32 v6, 8, v5
	s_delay_alu instid0(VALU_DEP_1) | instskip(NEXT) | instid1(VALU_DEP_1)
	v_cmp_gt_i32_e64 s2, 32, v6
	v_cndmask_b32_e64 v6, v5, v6, s2
	s_waitcnt lgkmcnt(0)
	v_cmp_lt_f64_e32 vcc_lo, v[1:2], v[3:4]
	s_delay_alu instid0(VALU_DEP_2) | instskip(SKIP_4) | instid1(VALU_DEP_1)
	v_dual_cndmask_b32 v1, v1, v3 :: v_dual_lshlrev_b32 v6, 2, v6
	ds_bpermute_b32 v3, v6, v1
	v_cndmask_b32_e32 v2, v2, v4, vcc_lo
	ds_bpermute_b32 v4, v6, v2
	v_xor_b32_e32 v6, 4, v5
	v_cmp_gt_i32_e64 s2, 32, v6
	s_delay_alu instid0(VALU_DEP_1) | instskip(SKIP_2) | instid1(VALU_DEP_2)
	v_cndmask_b32_e64 v6, v5, v6, s2
	s_waitcnt lgkmcnt(0)
	v_cmp_lt_f64_e32 vcc_lo, v[1:2], v[3:4]
	v_dual_cndmask_b32 v1, v1, v3 :: v_dual_lshlrev_b32 v6, 2, v6
	v_cndmask_b32_e32 v2, v2, v4, vcc_lo
	ds_bpermute_b32 v3, v6, v1
	ds_bpermute_b32 v4, v6, v2
	v_xor_b32_e32 v6, 2, v5
	s_delay_alu instid0(VALU_DEP_1) | instskip(NEXT) | instid1(VALU_DEP_1)
	v_cmp_gt_i32_e64 s2, 32, v6
	v_cndmask_b32_e64 v6, v5, v6, s2
	s_waitcnt lgkmcnt(0)
	v_cmp_lt_f64_e32 vcc_lo, v[1:2], v[3:4]
	v_dual_cndmask_b32 v2, v2, v4 :: v_dual_cndmask_b32 v1, v1, v3
	s_delay_alu instid0(VALU_DEP_3) | instskip(SKIP_3) | instid1(VALU_DEP_1)
	v_lshlrev_b32_e32 v6, 2, v6
	ds_bpermute_b32 v4, v6, v2
	ds_bpermute_b32 v3, v6, v1
	v_xor_b32_e32 v6, 1, v5
	v_cmp_gt_i32_e64 s2, 32, v6
	s_delay_alu instid0(VALU_DEP_1) | instskip(SKIP_1) | instid1(VALU_DEP_1)
	v_cndmask_b32_e64 v5, v5, v6, s2
	s_mov_b32 s2, exec_lo
	v_lshlrev_b32_e32 v5, 2, v5
	s_waitcnt lgkmcnt(0)
	v_cmp_lt_f64_e32 vcc_lo, v[1:2], v[3:4]
	v_dual_cndmask_b32 v1, v1, v3 :: v_dual_cndmask_b32 v2, v2, v4
	ds_bpermute_b32 v3, v5, v1
	ds_bpermute_b32 v4, v5, v2
	v_cmpx_eq_u32_e32 63, v26
	s_cbranch_execz .LBB26_35
; %bb.34:
	s_waitcnt lgkmcnt(0)
	v_cmp_lt_f64_e32 vcc_lo, v[1:2], v[3:4]
	v_dual_cndmask_b32 v2, v2, v4 :: v_dual_lshlrev_b32 v5, 3, v25
	v_cndmask_b32_e32 v1, v1, v3, vcc_lo
	ds_store_b64 v5, v[1:2]
.LBB26_35:
	s_or_b32 exec_lo, exec_lo, s2
	v_lshlrev_b32_e32 v1, 3, v0
	s_mov_b32 s2, exec_lo
	s_waitcnt lgkmcnt(0)
	s_waitcnt_vscnt null, 0x0
	s_barrier
	buffer_gl0_inv
	v_cmpx_gt_u32_e32 8, v0
	s_cbranch_execz .LBB26_37
; %bb.36:
	ds_load_2addr_b64 v[2:5], v1 offset1:8
	s_waitcnt lgkmcnt(0)
	v_cmp_lt_f64_e32 vcc_lo, v[2:3], v[4:5]
	v_dual_cndmask_b32 v3, v3, v5 :: v_dual_cndmask_b32 v2, v2, v4
	ds_store_b64 v1, v[2:3]
.LBB26_37:
	s_or_b32 exec_lo, exec_lo, s2
	s_delay_alu instid0(SALU_CYCLE_1)
	s_mov_b32 s2, exec_lo
	s_waitcnt lgkmcnt(0)
	s_barrier
	buffer_gl0_inv
	v_cmpx_gt_u32_e32 4, v0
	s_cbranch_execz .LBB26_39
; %bb.38:
	ds_load_2addr_b64 v[2:5], v1 offset1:4
	s_waitcnt lgkmcnt(0)
	v_cmp_lt_f64_e32 vcc_lo, v[2:3], v[4:5]
	v_dual_cndmask_b32 v3, v3, v5 :: v_dual_cndmask_b32 v2, v2, v4
	ds_store_b64 v1, v[2:3]
.LBB26_39:
	s_or_b32 exec_lo, exec_lo, s2
	s_delay_alu instid0(SALU_CYCLE_1)
	s_mov_b32 s2, exec_lo
	s_waitcnt lgkmcnt(0)
	s_barrier
	buffer_gl0_inv
	v_cmpx_gt_u32_e32 2, v0
	s_cbranch_execz .LBB26_41
; %bb.40:
	ds_load_2addr_b64 v[2:5], v1 offset1:2
	s_waitcnt lgkmcnt(0)
	v_cmp_lt_f64_e32 vcc_lo, v[2:3], v[4:5]
	v_dual_cndmask_b32 v3, v3, v5 :: v_dual_cndmask_b32 v2, v2, v4
	ds_store_b64 v1, v[2:3]
.LBB26_41:
	s_or_b32 exec_lo, exec_lo, s2
	v_cmp_eq_u32_e32 vcc_lo, 0, v0
	s_waitcnt lgkmcnt(0)
	s_barrier
	buffer_gl0_inv
	s_and_saveexec_b32 s3, vcc_lo
	s_cbranch_execz .LBB26_43
; %bb.42:
	v_mov_b32_e32 v4, 0
	ds_load_b128 v[0:3], v4
	s_waitcnt lgkmcnt(0)
	v_cmp_lt_f64_e64 s2, v[0:1], v[2:3]
	s_delay_alu instid0(VALU_DEP_1)
	v_cndmask_b32_e64 v1, v1, v3, s2
	v_cndmask_b32_e64 v0, v0, v2, s2
	ds_store_b64 v4, v[0:1]
.LBB26_43:
	s_or_b32 exec_lo, exec_lo, s3
	s_waitcnt lgkmcnt(0)
	s_barrier
	buffer_gl0_inv
	s_and_saveexec_b32 s2, vcc_lo
	s_cbranch_execz .LBB26_48
; %bb.44:
	s_load_b128 s[4:7], s[0:1], 0x70
	v_mov_b32_e32 v4, 0
	s_brev_b32 s3, 1
	s_mov_b32 s2, 0
	ds_load_b64 v[0:1], v4
	s_waitcnt lgkmcnt(0)
	s_load_b64 s[0:1], s[6:7], 0x0
	global_load_b64 v[2:3], v4, s[4:5] glc
	s_waitcnt lgkmcnt(0)
	v_div_scale_f64 v[5:6], null, s[0:1], s[0:1], v[0:1]
	s_delay_alu instid0(VALU_DEP_1) | instskip(SKIP_2) | instid1(VALU_DEP_1)
	v_rcp_f64_e32 v[7:8], v[5:6]
	s_waitcnt_depctr 0xfff
	v_fma_f64 v[9:10], -v[5:6], v[7:8], 1.0
	v_fma_f64 v[7:8], v[7:8], v[9:10], v[7:8]
	s_delay_alu instid0(VALU_DEP_1) | instskip(NEXT) | instid1(VALU_DEP_1)
	v_fma_f64 v[9:10], -v[5:6], v[7:8], 1.0
	v_fma_f64 v[7:8], v[7:8], v[9:10], v[7:8]
	v_div_scale_f64 v[9:10], vcc_lo, v[0:1], s[0:1], v[0:1]
	s_delay_alu instid0(VALU_DEP_1) | instskip(NEXT) | instid1(VALU_DEP_1)
	v_mul_f64 v[11:12], v[9:10], v[7:8]
	v_fma_f64 v[5:6], -v[5:6], v[11:12], v[9:10]
	s_waitcnt vmcnt(0)
	v_cmp_eq_u64_e64 s6, s[2:3], v[2:3]
                                        ; implicit-def: $sgpr3
	s_delay_alu instid0(VALU_DEP_2) | instskip(NEXT) | instid1(VALU_DEP_1)
	v_div_fmas_f64 v[5:6], v[5:6], v[7:8], v[11:12]
	v_div_fixup_f64 v[0:1], v[5:6], s[0:1], v[0:1]
                                        ; implicit-def: $sgpr1
	s_delay_alu instid0(VALU_DEP_1)
	v_cmp_eq_f64_e32 vcc_lo, 0, v[0:1]
	s_set_inst_prefetch_distance 0x1
	s_branch .LBB26_46
	.p2align	6
.LBB26_45:                              ;   in Loop: Header=BB26_46 Depth=1
	s_or_b32 exec_lo, exec_lo, s7
	s_delay_alu instid0(SALU_CYCLE_1) | instskip(NEXT) | instid1(SALU_CYCLE_1)
	s_and_b32 s0, exec_lo, s1
	s_or_b32 s2, s0, s2
	s_and_not1_b32 s0, s6, exec_lo
	s_and_b32 s6, s3, exec_lo
	s_delay_alu instid0(SALU_CYCLE_1)
	s_or_b32 s6, s0, s6
	s_and_not1_b32 exec_lo, exec_lo, s2
	s_cbranch_execz .LBB26_48
.LBB26_46:                              ; =>This Inner Loop Header: Depth=1
	v_cmp_lt_f64_e64 s0, v[2:3], v[0:1]
	s_and_b32 s7, vcc_lo, s6
	s_and_not1_b32 s3, s3, exec_lo
	s_or_b32 s1, s1, exec_lo
	s_delay_alu instid0(VALU_DEP_1) | instskip(NEXT) | instid1(SALU_CYCLE_1)
	s_or_b32 s0, s0, s7
	s_and_saveexec_b32 s7, s0
	s_cbranch_execz .LBB26_45
; %bb.47:                               ;   in Loop: Header=BB26_46 Depth=1
	global_atomic_cmpswap_b64 v[5:6], v4, v[0:3], s[4:5] glc
	s_and_not1_b32 s3, s3, exec_lo
	s_and_not1_b32 s1, s1, exec_lo
	s_waitcnt vmcnt(0)
	v_cmp_eq_u64_e64 s0, v[5:6], v[2:3]
	s_delay_alu instid0(VALU_DEP_1) | instskip(SKIP_2) | instid1(SALU_CYCLE_1)
	v_cndmask_b32_e64 v3, v6, v3, s0
	v_cndmask_b32_e64 v2, v5, v2, s0
	s_and_b32 s0, s0, exec_lo
	s_or_b32 s1, s1, s0
	s_delay_alu instid0(VALU_DEP_1) | instskip(SKIP_1) | instid1(VALU_DEP_2)
	v_cmp_class_f64_e64 s6, v[2:3], 32
	v_dual_mov_b32 v2, v5 :: v_dual_mov_b32 v3, v6
	s_and_b32 s6, s6, exec_lo
	s_delay_alu instid0(SALU_CYCLE_1)
	s_or_b32 s3, s3, s6
                                        ; implicit-def: $sgpr6
	s_branch .LBB26_45
.LBB26_48:
	s_set_inst_prefetch_distance 0x2
	s_endpgm
	.section	.rodata,"a",@progbits
	.p2align	6, 0x0
	.amdhsa_kernel _ZN9rocsparseL16kernel_calculateILi1024ELi64ELb1EdiiEEvT4_T3_PKS2_S4_PKS1_PKT2_21rocsparse_index_base_S4_S4_S6_S4_S4_S6_S4_PS7_PNS_15floating_traitsIS7_E6data_tEPKSE_
		.amdhsa_group_segment_fixed_size 128
		.amdhsa_private_segment_fixed_size 0
		.amdhsa_kernarg_size 128
		.amdhsa_user_sgpr_count 15
		.amdhsa_user_sgpr_dispatch_ptr 0
		.amdhsa_user_sgpr_queue_ptr 0
		.amdhsa_user_sgpr_kernarg_segment_ptr 1
		.amdhsa_user_sgpr_dispatch_id 0
		.amdhsa_user_sgpr_private_segment_size 0
		.amdhsa_wavefront_size32 1
		.amdhsa_uses_dynamic_stack 0
		.amdhsa_enable_private_segment 0
		.amdhsa_system_sgpr_workgroup_id_x 1
		.amdhsa_system_sgpr_workgroup_id_y 0
		.amdhsa_system_sgpr_workgroup_id_z 0
		.amdhsa_system_sgpr_workgroup_info 0
		.amdhsa_system_vgpr_workitem_id 0
		.amdhsa_next_free_vgpr 33
		.amdhsa_next_free_sgpr 42
		.amdhsa_reserve_vcc 1
		.amdhsa_float_round_mode_32 0
		.amdhsa_float_round_mode_16_64 0
		.amdhsa_float_denorm_mode_32 3
		.amdhsa_float_denorm_mode_16_64 3
		.amdhsa_dx10_clamp 1
		.amdhsa_ieee_mode 1
		.amdhsa_fp16_overflow 0
		.amdhsa_workgroup_processor_mode 1
		.amdhsa_memory_ordered 1
		.amdhsa_forward_progress 0
		.amdhsa_shared_vgpr_count 0
		.amdhsa_exception_fp_ieee_invalid_op 0
		.amdhsa_exception_fp_denorm_src 0
		.amdhsa_exception_fp_ieee_div_zero 0
		.amdhsa_exception_fp_ieee_overflow 0
		.amdhsa_exception_fp_ieee_underflow 0
		.amdhsa_exception_fp_ieee_inexact 0
		.amdhsa_exception_int_div_zero 0
	.end_amdhsa_kernel
	.section	.text._ZN9rocsparseL16kernel_calculateILi1024ELi64ELb1EdiiEEvT4_T3_PKS2_S4_PKS1_PKT2_21rocsparse_index_base_S4_S4_S6_S4_S4_S6_S4_PS7_PNS_15floating_traitsIS7_E6data_tEPKSE_,"axG",@progbits,_ZN9rocsparseL16kernel_calculateILi1024ELi64ELb1EdiiEEvT4_T3_PKS2_S4_PKS1_PKT2_21rocsparse_index_base_S4_S4_S6_S4_S4_S6_S4_PS7_PNS_15floating_traitsIS7_E6data_tEPKSE_,comdat
.Lfunc_end26:
	.size	_ZN9rocsparseL16kernel_calculateILi1024ELi64ELb1EdiiEEvT4_T3_PKS2_S4_PKS1_PKT2_21rocsparse_index_base_S4_S4_S6_S4_S4_S6_S4_PS7_PNS_15floating_traitsIS7_E6data_tEPKSE_, .Lfunc_end26-_ZN9rocsparseL16kernel_calculateILi1024ELi64ELb1EdiiEEvT4_T3_PKS2_S4_PKS1_PKT2_21rocsparse_index_base_S4_S4_S6_S4_S4_S6_S4_PS7_PNS_15floating_traitsIS7_E6data_tEPKSE_
                                        ; -- End function
	.section	.AMDGPU.csdata,"",@progbits
; Kernel info:
; codeLenInByte = 2884
; NumSgprs: 44
; NumVgprs: 33
; ScratchSize: 0
; MemoryBound: 1
; FloatMode: 240
; IeeeMode: 1
; LDSByteSize: 128 bytes/workgroup (compile time only)
; SGPRBlocks: 5
; VGPRBlocks: 4
; NumSGPRsForWavesPerEU: 44
; NumVGPRsForWavesPerEU: 33
; Occupancy: 16
; WaveLimiterHint : 1
; COMPUTE_PGM_RSRC2:SCRATCH_EN: 0
; COMPUTE_PGM_RSRC2:USER_SGPR: 15
; COMPUTE_PGM_RSRC2:TRAP_HANDLER: 0
; COMPUTE_PGM_RSRC2:TGID_X_EN: 1
; COMPUTE_PGM_RSRC2:TGID_Y_EN: 0
; COMPUTE_PGM_RSRC2:TGID_Z_EN: 0
; COMPUTE_PGM_RSRC2:TIDIG_COMP_CNT: 0
	.section	.text._ZN9rocsparseL16kernel_calculateILi1024ELi1ELb0EdiiEEvT4_T3_PKS2_S4_PKS1_PKT2_21rocsparse_index_base_S4_S4_S6_S4_S4_S6_S4_PS7_PNS_15floating_traitsIS7_E6data_tEPKSE_,"axG",@progbits,_ZN9rocsparseL16kernel_calculateILi1024ELi1ELb0EdiiEEvT4_T3_PKS2_S4_PKS1_PKT2_21rocsparse_index_base_S4_S4_S6_S4_S4_S6_S4_PS7_PNS_15floating_traitsIS7_E6data_tEPKSE_,comdat
	.globl	_ZN9rocsparseL16kernel_calculateILi1024ELi1ELb0EdiiEEvT4_T3_PKS2_S4_PKS1_PKT2_21rocsparse_index_base_S4_S4_S6_S4_S4_S6_S4_PS7_PNS_15floating_traitsIS7_E6data_tEPKSE_ ; -- Begin function _ZN9rocsparseL16kernel_calculateILi1024ELi1ELb0EdiiEEvT4_T3_PKS2_S4_PKS1_PKT2_21rocsparse_index_base_S4_S4_S6_S4_S4_S6_S4_PS7_PNS_15floating_traitsIS7_E6data_tEPKSE_
	.p2align	8
	.type	_ZN9rocsparseL16kernel_calculateILi1024ELi1ELb0EdiiEEvT4_T3_PKS2_S4_PKS1_PKT2_21rocsparse_index_base_S4_S4_S6_S4_S4_S6_S4_PS7_PNS_15floating_traitsIS7_E6data_tEPKSE_,@function
_ZN9rocsparseL16kernel_calculateILi1024ELi1ELb0EdiiEEvT4_T3_PKS2_S4_PKS1_PKT2_21rocsparse_index_base_S4_S4_S6_S4_S4_S6_S4_PS7_PNS_15floating_traitsIS7_E6data_tEPKSE_: ; @_ZN9rocsparseL16kernel_calculateILi1024ELi1ELb0EdiiEEvT4_T3_PKS2_S4_PKS1_PKT2_21rocsparse_index_base_S4_S4_S6_S4_S4_S6_S4_PS7_PNS_15floating_traitsIS7_E6data_tEPKSE_
; %bb.0:
	s_load_b32 s2, s[0:1], 0x0
	v_lshl_or_b32 v0, s15, 10, v0
	s_waitcnt lgkmcnt(0)
	s_delay_alu instid0(VALU_DEP_1)
	v_cmp_gt_i32_e32 vcc_lo, s2, v0
	s_and_saveexec_b32 s2, vcc_lo
	s_cbranch_execz .LBB27_12
; %bb.1:
	s_load_b128 s[4:7], s[0:1], 0x8
	v_ashrrev_i32_e32 v1, 31, v0
	s_delay_alu instid0(VALU_DEP_1) | instskip(SKIP_1) | instid1(VALU_DEP_1)
	v_lshlrev_b64 v[1:2], 2, v[0:1]
	s_waitcnt lgkmcnt(0)
	v_add_co_u32 v3, vcc_lo, s6, v1
	s_delay_alu instid0(VALU_DEP_2)
	v_add_co_ci_u32_e32 v4, vcc_lo, s7, v2, vcc_lo
	v_add_co_u32 v5, vcc_lo, s4, v1
	v_add_co_ci_u32_e32 v6, vcc_lo, s5, v2, vcc_lo
	global_load_b32 v3, v[3:4], off
	global_load_b32 v4, v[5:6], off
	s_waitcnt vmcnt(0)
	v_cmp_lt_i32_e32 vcc_lo, v4, v3
	s_and_b32 exec_lo, exec_lo, vcc_lo
	s_cbranch_execz .LBB27_12
; %bb.2:
	s_load_b256 s[4:11], s[0:1], 0x30
	s_mov_b32 s3, 0
	s_waitcnt lgkmcnt(0)
	v_add_co_u32 v5, vcc_lo, s6, v1
	v_add_co_ci_u32_e32 v6, vcc_lo, s7, v2, vcc_lo
	v_add_co_u32 v1, vcc_lo, s4, v1
	v_add_co_ci_u32_e32 v2, vcc_lo, s5, v2, vcc_lo
	global_load_b32 v5, v[5:6], off
	global_load_b32 v2, v[1:2], off
	s_clause 0x2
	s_load_b32 s2, s[0:1], 0x28
	s_load_b128 s[20:23], s[0:1], 0x18
	s_load_b256 s[12:19], s[0:1], 0x50
	s_waitcnt lgkmcnt(0)
	v_subrev_nc_u32_e32 v18, s2, v3
	v_subrev_nc_u32_e32 v1, s2, v4
	s_waitcnt vmcnt(1)
	v_subrev_nc_u32_e32 v19, s2, v5
	s_waitcnt vmcnt(0)
	v_cmp_lt_i32_e64 s0, v2, v5
	v_subrev_nc_u32_e32 v20, s2, v2
	s_branch .LBB27_4
.LBB27_3:                               ;   in Loop: Header=BB27_4 Depth=1
	s_or_b32 exec_lo, exec_lo, s1
	v_add_nc_u32_e32 v1, 1, v1
	s_delay_alu instid0(VALU_DEP_1) | instskip(SKIP_1) | instid1(SALU_CYCLE_1)
	v_cmp_ge_i32_e32 vcc_lo, v1, v18
	s_or_b32 s3, vcc_lo, s3
	s_and_not1_b32 exec_lo, exec_lo, s3
	s_cbranch_execz .LBB27_12
.LBB27_4:                               ; =>This Loop Header: Depth=1
                                        ;     Child Loop BB27_7 Depth 2
	v_ashrrev_i32_e32 v2, 31, v1
	s_delay_alu instid0(VALU_DEP_1) | instskip(NEXT) | instid1(VALU_DEP_1)
	v_lshlrev_b64 v[3:4], 2, v[1:2]
	v_add_co_u32 v3, vcc_lo, s20, v3
	s_delay_alu instid0(VALU_DEP_2) | instskip(SKIP_3) | instid1(VALU_DEP_1)
	v_add_co_ci_u32_e32 v4, vcc_lo, s21, v4, vcc_lo
	global_load_b32 v3, v[3:4], off
	s_waitcnt vmcnt(0)
	v_subrev_nc_u32_e32 v3, s2, v3
	v_ashrrev_i32_e32 v4, 31, v3
	s_delay_alu instid0(VALU_DEP_1) | instskip(NEXT) | instid1(VALU_DEP_1)
	v_lshlrev_b64 v[6:7], 2, v[3:4]
	v_add_co_u32 v4, vcc_lo, s6, v6
	s_delay_alu instid0(VALU_DEP_2)
	v_add_co_ci_u32_e32 v5, vcc_lo, s7, v7, vcc_lo
	v_add_co_u32 v10, vcc_lo, s12, v6
	v_add_co_ci_u32_e32 v11, vcc_lo, s13, v7, vcc_lo
	global_load_b32 v8, v[4:5], off
	v_lshlrev_b64 v[4:5], 3, v[1:2]
	v_add_co_u32 v6, vcc_lo, s10, v6
	v_add_co_ci_u32_e32 v7, vcc_lo, s11, v7, vcc_lo
	global_load_b32 v2, v[10:11], off
	global_load_b32 v12, v[6:7], off
	v_add_co_u32 v13, vcc_lo, s22, v4
	v_add_co_ci_u32_e32 v14, vcc_lo, s23, v5, vcc_lo
	v_mov_b32_e32 v10, 0
	v_mov_b32_e32 v11, 0
	s_waitcnt vmcnt(2)
	v_subrev_nc_u32_e32 v8, s2, v8
	s_delay_alu instid0(VALU_DEP_1) | instskip(NEXT) | instid1(VALU_DEP_1)
	v_ashrrev_i32_e32 v9, 31, v8
	v_lshlrev_b64 v[8:9], 3, v[8:9]
	s_delay_alu instid0(VALU_DEP_1) | instskip(NEXT) | instid1(VALU_DEP_2)
	v_add_co_u32 v6, vcc_lo, s18, v8
	v_add_co_ci_u32_e32 v7, vcc_lo, s19, v9, vcc_lo
	s_waitcnt vmcnt(0)
	v_cmp_lt_i32_e32 vcc_lo, v12, v2
	global_load_b64 v[8:9], v[13:14], off
	global_load_b64 v[6:7], v[6:7], off
	s_and_b32 s1, s0, vcc_lo
	s_delay_alu instid0(SALU_CYCLE_1)
	s_and_saveexec_b32 s4, s1
	s_cbranch_execz .LBB27_10
; %bb.5:                                ;   in Loop: Header=BB27_4 Depth=1
	v_mov_b32_e32 v10, 0
	v_subrev_nc_u32_e32 v2, s2, v2
	v_subrev_nc_u32_e32 v12, s2, v12
	v_dual_mov_b32 v11, 0 :: v_dual_mov_b32 v14, v20
	s_mov_b32 s5, 0
	s_branch .LBB27_7
.LBB27_6:                               ;   in Loop: Header=BB27_7 Depth=2
	s_or_b32 exec_lo, exec_lo, s1
	v_cmp_le_i32_e32 vcc_lo, v13, v21
	v_add_co_ci_u32_e32 v14, vcc_lo, 0, v14, vcc_lo
	v_cmp_ge_i32_e32 vcc_lo, v13, v21
	v_add_co_ci_u32_e32 v12, vcc_lo, 0, v12, vcc_lo
	s_delay_alu instid0(VALU_DEP_3) | instskip(NEXT) | instid1(VALU_DEP_2)
	v_cmp_ge_i32_e32 vcc_lo, v14, v19
	v_cmp_ge_i32_e64 s1, v12, v2
	s_delay_alu instid0(VALU_DEP_1) | instskip(NEXT) | instid1(SALU_CYCLE_1)
	s_or_b32 s1, vcc_lo, s1
	s_and_b32 s1, exec_lo, s1
	s_delay_alu instid0(SALU_CYCLE_1) | instskip(NEXT) | instid1(SALU_CYCLE_1)
	s_or_b32 s5, s1, s5
	s_and_not1_b32 exec_lo, exec_lo, s5
	s_cbranch_execz .LBB27_9
.LBB27_7:                               ;   Parent Loop BB27_4 Depth=1
                                        ; =>  This Inner Loop Header: Depth=2
	s_delay_alu instid0(VALU_DEP_1) | instskip(SKIP_2) | instid1(VALU_DEP_2)
	v_ashrrev_i32_e32 v15, 31, v14
	v_ashrrev_i32_e32 v13, 31, v12
	s_mov_b32 s1, exec_lo
	v_lshlrev_b64 v[21:22], 2, v[14:15]
	s_delay_alu instid0(VALU_DEP_2) | instskip(NEXT) | instid1(VALU_DEP_2)
	v_lshlrev_b64 v[16:17], 2, v[12:13]
	v_add_co_u32 v21, vcc_lo, s8, v21
	s_delay_alu instid0(VALU_DEP_3) | instskip(NEXT) | instid1(VALU_DEP_3)
	v_add_co_ci_u32_e32 v22, vcc_lo, s9, v22, vcc_lo
	v_add_co_u32 v23, vcc_lo, s14, v16
	s_delay_alu instid0(VALU_DEP_4)
	v_add_co_ci_u32_e32 v24, vcc_lo, s15, v17, vcc_lo
	global_load_b32 v13, v[21:22], off
	global_load_b32 v21, v[23:24], off
	s_waitcnt vmcnt(0)
	v_cmpx_eq_u32_e64 v13, v21
	s_cbranch_execz .LBB27_6
; %bb.8:                                ;   in Loop: Header=BB27_7 Depth=2
	v_add_co_u32 v16, vcc_lo, s16, v16
	v_add_co_ci_u32_e32 v17, vcc_lo, s17, v17, vcc_lo
	v_lshlrev_b64 v[22:23], 3, v[14:15]
	global_load_b32 v16, v[16:17], off
	v_add_co_u32 v22, vcc_lo, s18, v22
	v_add_co_ci_u32_e32 v23, vcc_lo, s19, v23, vcc_lo
	s_waitcnt vmcnt(0)
	v_ashrrev_i32_e32 v17, 31, v16
	s_delay_alu instid0(VALU_DEP_1) | instskip(NEXT) | instid1(VALU_DEP_1)
	v_lshlrev_b64 v[15:16], 3, v[16:17]
	v_add_co_u32 v15, vcc_lo, s18, v15
	s_delay_alu instid0(VALU_DEP_2)
	v_add_co_ci_u32_e32 v16, vcc_lo, s19, v16, vcc_lo
	s_clause 0x1
	global_load_b64 v[22:23], v[22:23], off
	global_load_b64 v[15:16], v[15:16], off
	s_waitcnt vmcnt(0)
	v_fma_f64 v[10:11], v[22:23], v[15:16], v[10:11]
	s_branch .LBB27_6
.LBB27_9:                               ;   in Loop: Header=BB27_4 Depth=1
	s_or_b32 exec_lo, exec_lo, s5
.LBB27_10:                              ;   in Loop: Header=BB27_4 Depth=1
	s_delay_alu instid0(SALU_CYCLE_1) | instskip(SKIP_3) | instid1(VALU_DEP_1)
	s_or_b32 exec_lo, exec_lo, s4
	s_waitcnt vmcnt(1)
	v_add_f64 v[8:9], v[8:9], -v[10:11]
	s_waitcnt vmcnt(0)
	v_div_scale_f64 v[10:11], null, v[6:7], v[6:7], v[8:9]
	v_div_scale_f64 v[16:17], vcc_lo, v[8:9], v[6:7], v[8:9]
	s_delay_alu instid0(VALU_DEP_2) | instskip(SKIP_2) | instid1(VALU_DEP_1)
	v_rcp_f64_e32 v[12:13], v[10:11]
	s_waitcnt_depctr 0xfff
	v_fma_f64 v[14:15], -v[10:11], v[12:13], 1.0
	v_fma_f64 v[12:13], v[12:13], v[14:15], v[12:13]
	s_delay_alu instid0(VALU_DEP_1) | instskip(NEXT) | instid1(VALU_DEP_1)
	v_fma_f64 v[14:15], -v[10:11], v[12:13], 1.0
	v_fma_f64 v[12:13], v[12:13], v[14:15], v[12:13]
	s_delay_alu instid0(VALU_DEP_1) | instskip(NEXT) | instid1(VALU_DEP_1)
	v_mul_f64 v[14:15], v[16:17], v[12:13]
	v_fma_f64 v[10:11], -v[10:11], v[14:15], v[16:17]
	s_delay_alu instid0(VALU_DEP_1) | instskip(SKIP_1) | instid1(VALU_DEP_2)
	v_div_fmas_f64 v[10:11], v[10:11], v[12:13], v[14:15]
	v_cmp_gt_i32_e32 vcc_lo, v0, v3
	v_div_fixup_f64 v[6:7], v[10:11], v[6:7], v[8:9]
	s_delay_alu instid0(VALU_DEP_1) | instskip(NEXT) | instid1(VALU_DEP_1)
	v_dual_cndmask_b32 v3, v9, v7 :: v_dual_cndmask_b32 v2, v8, v6
	v_cmp_class_f64_e64 s4, v[2:3], 0x1f8
	s_delay_alu instid0(VALU_DEP_1)
	s_and_saveexec_b32 s1, s4
	s_cbranch_execz .LBB27_3
; %bb.11:                               ;   in Loop: Header=BB27_4 Depth=1
	v_add_co_u32 v4, vcc_lo, s18, v4
	v_add_co_ci_u32_e32 v5, vcc_lo, s19, v5, vcc_lo
	global_store_b64 v[4:5], v[2:3], off
	s_branch .LBB27_3
.LBB27_12:
	s_nop 0
	s_sendmsg sendmsg(MSG_DEALLOC_VGPRS)
	s_endpgm
	.section	.rodata,"a",@progbits
	.p2align	6, 0x0
	.amdhsa_kernel _ZN9rocsparseL16kernel_calculateILi1024ELi1ELb0EdiiEEvT4_T3_PKS2_S4_PKS1_PKT2_21rocsparse_index_base_S4_S4_S6_S4_S4_S6_S4_PS7_PNS_15floating_traitsIS7_E6data_tEPKSE_
		.amdhsa_group_segment_fixed_size 0
		.amdhsa_private_segment_fixed_size 0
		.amdhsa_kernarg_size 128
		.amdhsa_user_sgpr_count 15
		.amdhsa_user_sgpr_dispatch_ptr 0
		.amdhsa_user_sgpr_queue_ptr 0
		.amdhsa_user_sgpr_kernarg_segment_ptr 1
		.amdhsa_user_sgpr_dispatch_id 0
		.amdhsa_user_sgpr_private_segment_size 0
		.amdhsa_wavefront_size32 1
		.amdhsa_uses_dynamic_stack 0
		.amdhsa_enable_private_segment 0
		.amdhsa_system_sgpr_workgroup_id_x 1
		.amdhsa_system_sgpr_workgroup_id_y 0
		.amdhsa_system_sgpr_workgroup_id_z 0
		.amdhsa_system_sgpr_workgroup_info 0
		.amdhsa_system_vgpr_workitem_id 0
		.amdhsa_next_free_vgpr 25
		.amdhsa_next_free_sgpr 24
		.amdhsa_reserve_vcc 1
		.amdhsa_float_round_mode_32 0
		.amdhsa_float_round_mode_16_64 0
		.amdhsa_float_denorm_mode_32 3
		.amdhsa_float_denorm_mode_16_64 3
		.amdhsa_dx10_clamp 1
		.amdhsa_ieee_mode 1
		.amdhsa_fp16_overflow 0
		.amdhsa_workgroup_processor_mode 1
		.amdhsa_memory_ordered 1
		.amdhsa_forward_progress 0
		.amdhsa_shared_vgpr_count 0
		.amdhsa_exception_fp_ieee_invalid_op 0
		.amdhsa_exception_fp_denorm_src 0
		.amdhsa_exception_fp_ieee_div_zero 0
		.amdhsa_exception_fp_ieee_overflow 0
		.amdhsa_exception_fp_ieee_underflow 0
		.amdhsa_exception_fp_ieee_inexact 0
		.amdhsa_exception_int_div_zero 0
	.end_amdhsa_kernel
	.section	.text._ZN9rocsparseL16kernel_calculateILi1024ELi1ELb0EdiiEEvT4_T3_PKS2_S4_PKS1_PKT2_21rocsparse_index_base_S4_S4_S6_S4_S4_S6_S4_PS7_PNS_15floating_traitsIS7_E6data_tEPKSE_,"axG",@progbits,_ZN9rocsparseL16kernel_calculateILi1024ELi1ELb0EdiiEEvT4_T3_PKS2_S4_PKS1_PKT2_21rocsparse_index_base_S4_S4_S6_S4_S4_S6_S4_PS7_PNS_15floating_traitsIS7_E6data_tEPKSE_,comdat
.Lfunc_end27:
	.size	_ZN9rocsparseL16kernel_calculateILi1024ELi1ELb0EdiiEEvT4_T3_PKS2_S4_PKS1_PKT2_21rocsparse_index_base_S4_S4_S6_S4_S4_S6_S4_PS7_PNS_15floating_traitsIS7_E6data_tEPKSE_, .Lfunc_end27-_ZN9rocsparseL16kernel_calculateILi1024ELi1ELb0EdiiEEvT4_T3_PKS2_S4_PKS1_PKT2_21rocsparse_index_base_S4_S4_S6_S4_S4_S6_S4_PS7_PNS_15floating_traitsIS7_E6data_tEPKSE_
                                        ; -- End function
	.section	.AMDGPU.csdata,"",@progbits
; Kernel info:
; codeLenInByte = 1024
; NumSgprs: 26
; NumVgprs: 25
; ScratchSize: 0
; MemoryBound: 1
; FloatMode: 240
; IeeeMode: 1
; LDSByteSize: 0 bytes/workgroup (compile time only)
; SGPRBlocks: 3
; VGPRBlocks: 3
; NumSGPRsForWavesPerEU: 26
; NumVGPRsForWavesPerEU: 25
; Occupancy: 16
; WaveLimiterHint : 1
; COMPUTE_PGM_RSRC2:SCRATCH_EN: 0
; COMPUTE_PGM_RSRC2:USER_SGPR: 15
; COMPUTE_PGM_RSRC2:TRAP_HANDLER: 0
; COMPUTE_PGM_RSRC2:TGID_X_EN: 1
; COMPUTE_PGM_RSRC2:TGID_Y_EN: 0
; COMPUTE_PGM_RSRC2:TGID_Z_EN: 0
; COMPUTE_PGM_RSRC2:TIDIG_COMP_CNT: 0
	.section	.text._ZN9rocsparseL16kernel_calculateILi1024ELi2ELb0EdiiEEvT4_T3_PKS2_S4_PKS1_PKT2_21rocsparse_index_base_S4_S4_S6_S4_S4_S6_S4_PS7_PNS_15floating_traitsIS7_E6data_tEPKSE_,"axG",@progbits,_ZN9rocsparseL16kernel_calculateILi1024ELi2ELb0EdiiEEvT4_T3_PKS2_S4_PKS1_PKT2_21rocsparse_index_base_S4_S4_S6_S4_S4_S6_S4_PS7_PNS_15floating_traitsIS7_E6data_tEPKSE_,comdat
	.globl	_ZN9rocsparseL16kernel_calculateILi1024ELi2ELb0EdiiEEvT4_T3_PKS2_S4_PKS1_PKT2_21rocsparse_index_base_S4_S4_S6_S4_S4_S6_S4_PS7_PNS_15floating_traitsIS7_E6data_tEPKSE_ ; -- Begin function _ZN9rocsparseL16kernel_calculateILi1024ELi2ELb0EdiiEEvT4_T3_PKS2_S4_PKS1_PKT2_21rocsparse_index_base_S4_S4_S6_S4_S4_S6_S4_PS7_PNS_15floating_traitsIS7_E6data_tEPKSE_
	.p2align	8
	.type	_ZN9rocsparseL16kernel_calculateILi1024ELi2ELb0EdiiEEvT4_T3_PKS2_S4_PKS1_PKT2_21rocsparse_index_base_S4_S4_S6_S4_S4_S6_S4_PS7_PNS_15floating_traitsIS7_E6data_tEPKSE_,@function
_ZN9rocsparseL16kernel_calculateILi1024ELi2ELb0EdiiEEvT4_T3_PKS2_S4_PKS1_PKT2_21rocsparse_index_base_S4_S4_S6_S4_S4_S6_S4_PS7_PNS_15floating_traitsIS7_E6data_tEPKSE_: ; @_ZN9rocsparseL16kernel_calculateILi1024ELi2ELb0EdiiEEvT4_T3_PKS2_S4_PKS1_PKT2_21rocsparse_index_base_S4_S4_S6_S4_S4_S6_S4_PS7_PNS_15floating_traitsIS7_E6data_tEPKSE_
; %bb.0:
	s_load_b32 s3, s[0:1], 0x0
	v_lshrrev_b32_e32 v1, 1, v0
	s_mov_b32 s2, exec_lo
	s_delay_alu instid0(VALU_DEP_1) | instskip(SKIP_1) | instid1(VALU_DEP_1)
	v_lshl_or_b32 v1, s15, 10, v1
	s_waitcnt lgkmcnt(0)
	v_cmpx_gt_i32_e64 s3, v1
	s_cbranch_execz .LBB28_24
; %bb.1:
	s_load_b256 s[4:11], s[0:1], 0x8
	v_ashrrev_i32_e32 v2, 31, v1
	v_and_b32_e32 v0, 1, v0
	s_delay_alu instid0(VALU_DEP_2) | instskip(SKIP_1) | instid1(VALU_DEP_1)
	v_lshlrev_b64 v[2:3], 2, v[1:2]
	s_waitcnt lgkmcnt(0)
	v_add_co_u32 v4, vcc_lo, s6, v2
	s_delay_alu instid0(VALU_DEP_2)
	v_add_co_ci_u32_e32 v5, vcc_lo, s7, v3, vcc_lo
	v_add_co_u32 v6, vcc_lo, s4, v2
	v_add_co_ci_u32_e32 v7, vcc_lo, s5, v3, vcc_lo
	s_mov_b32 s4, exec_lo
	global_load_b32 v8, v[4:5], off
	global_load_b32 v9, v[6:7], off
	s_clause 0x2
	s_load_b32 s2, s[0:1], 0x28
	s_load_b256 s[12:19], s[0:1], 0x50
	s_load_b256 s[20:27], s[0:1], 0x30
	s_waitcnt lgkmcnt(0)
	v_subrev_nc_u32_e32 v0, s2, v0
	s_waitcnt vmcnt(1)
	v_subrev_nc_u32_e32 v25, s2, v8
	s_waitcnt vmcnt(0)
	s_delay_alu instid0(VALU_DEP_2) | instskip(NEXT) | instid1(VALU_DEP_1)
	v_add_nc_u32_e32 v8, v0, v9
	v_cmpx_lt_i32_e64 v8, v25
	s_cbranch_execz .LBB28_12
; %bb.2:
	v_add_co_u32 v9, vcc_lo, s22, v2
	v_add_co_ci_u32_e32 v10, vcc_lo, s23, v3, vcc_lo
	v_add_co_u32 v11, vcc_lo, s20, v2
	v_add_co_ci_u32_e32 v12, vcc_lo, s21, v3, vcc_lo
	s_mov_b32 s5, 0
	global_load_b32 v9, v[9:10], off
	global_load_b32 v10, v[11:12], off
	s_waitcnt vmcnt(1)
	v_subrev_nc_u32_e32 v26, s2, v9
	s_waitcnt vmcnt(0)
	v_cmp_lt_i32_e64 s0, v10, v9
	v_subrev_nc_u32_e32 v27, s2, v10
	s_branch .LBB28_4
.LBB28_3:                               ;   in Loop: Header=BB28_4 Depth=1
	s_or_b32 exec_lo, exec_lo, s1
	v_add_nc_u32_e32 v8, 2, v8
	s_delay_alu instid0(VALU_DEP_1) | instskip(SKIP_1) | instid1(SALU_CYCLE_1)
	v_cmp_ge_i32_e32 vcc_lo, v8, v25
	s_or_b32 s5, vcc_lo, s5
	s_and_not1_b32 exec_lo, exec_lo, s5
	s_cbranch_execz .LBB28_12
.LBB28_4:                               ; =>This Loop Header: Depth=1
                                        ;     Child Loop BB28_7 Depth 2
	v_ashrrev_i32_e32 v9, 31, v8
	s_delay_alu instid0(VALU_DEP_1) | instskip(NEXT) | instid1(VALU_DEP_1)
	v_lshlrev_b64 v[10:11], 2, v[8:9]
	v_add_co_u32 v10, vcc_lo, s8, v10
	s_delay_alu instid0(VALU_DEP_2) | instskip(SKIP_3) | instid1(VALU_DEP_1)
	v_add_co_ci_u32_e32 v11, vcc_lo, s9, v11, vcc_lo
	global_load_b32 v10, v[10:11], off
	s_waitcnt vmcnt(0)
	v_subrev_nc_u32_e32 v10, s2, v10
	v_ashrrev_i32_e32 v11, 31, v10
	s_delay_alu instid0(VALU_DEP_1) | instskip(NEXT) | instid1(VALU_DEP_1)
	v_lshlrev_b64 v[13:14], 2, v[10:11]
	v_add_co_u32 v11, vcc_lo, s22, v13
	s_delay_alu instid0(VALU_DEP_2)
	v_add_co_ci_u32_e32 v12, vcc_lo, s23, v14, vcc_lo
	v_add_co_u32 v17, vcc_lo, s12, v13
	v_add_co_ci_u32_e32 v18, vcc_lo, s13, v14, vcc_lo
	global_load_b32 v15, v[11:12], off
	v_lshlrev_b64 v[11:12], 3, v[8:9]
	v_add_co_u32 v13, vcc_lo, s26, v13
	v_add_co_ci_u32_e32 v14, vcc_lo, s27, v14, vcc_lo
	global_load_b32 v9, v[17:18], off
	global_load_b32 v19, v[13:14], off
	v_add_co_u32 v20, vcc_lo, s10, v11
	v_add_co_ci_u32_e32 v21, vcc_lo, s11, v12, vcc_lo
	v_mov_b32_e32 v17, 0
	v_mov_b32_e32 v18, 0
	s_waitcnt vmcnt(2)
	v_subrev_nc_u32_e32 v15, s2, v15
	s_delay_alu instid0(VALU_DEP_1) | instskip(NEXT) | instid1(VALU_DEP_1)
	v_ashrrev_i32_e32 v16, 31, v15
	v_lshlrev_b64 v[15:16], 3, v[15:16]
	s_delay_alu instid0(VALU_DEP_1) | instskip(NEXT) | instid1(VALU_DEP_2)
	v_add_co_u32 v13, vcc_lo, s18, v15
	v_add_co_ci_u32_e32 v14, vcc_lo, s19, v16, vcc_lo
	s_waitcnt vmcnt(0)
	v_cmp_lt_i32_e32 vcc_lo, v19, v9
	global_load_b64 v[15:16], v[20:21], off
	global_load_b64 v[13:14], v[13:14], off
	s_and_b32 s1, s0, vcc_lo
	s_delay_alu instid0(SALU_CYCLE_1)
	s_and_saveexec_b32 s6, s1
	s_cbranch_execz .LBB28_10
; %bb.5:                                ;   in Loop: Header=BB28_4 Depth=1
	v_mov_b32_e32 v17, 0
	v_subrev_nc_u32_e32 v9, s2, v9
	v_subrev_nc_u32_e32 v19, s2, v19
	v_dual_mov_b32 v18, 0 :: v_dual_mov_b32 v21, v27
	s_mov_b32 s7, 0
	s_branch .LBB28_7
.LBB28_6:                               ;   in Loop: Header=BB28_7 Depth=2
	s_or_b32 exec_lo, exec_lo, s1
	v_cmp_le_i32_e32 vcc_lo, v20, v28
	v_add_co_ci_u32_e32 v21, vcc_lo, 0, v21, vcc_lo
	v_cmp_ge_i32_e32 vcc_lo, v20, v28
	v_add_co_ci_u32_e32 v19, vcc_lo, 0, v19, vcc_lo
	s_delay_alu instid0(VALU_DEP_3) | instskip(NEXT) | instid1(VALU_DEP_2)
	v_cmp_ge_i32_e32 vcc_lo, v21, v26
	v_cmp_ge_i32_e64 s1, v19, v9
	s_delay_alu instid0(VALU_DEP_1) | instskip(NEXT) | instid1(SALU_CYCLE_1)
	s_or_b32 s1, vcc_lo, s1
	s_and_b32 s1, exec_lo, s1
	s_delay_alu instid0(SALU_CYCLE_1) | instskip(NEXT) | instid1(SALU_CYCLE_1)
	s_or_b32 s7, s1, s7
	s_and_not1_b32 exec_lo, exec_lo, s7
	s_cbranch_execz .LBB28_9
.LBB28_7:                               ;   Parent Loop BB28_4 Depth=1
                                        ; =>  This Inner Loop Header: Depth=2
	s_delay_alu instid0(VALU_DEP_1) | instskip(SKIP_2) | instid1(VALU_DEP_2)
	v_ashrrev_i32_e32 v22, 31, v21
	v_ashrrev_i32_e32 v20, 31, v19
	s_mov_b32 s1, exec_lo
	v_lshlrev_b64 v[28:29], 2, v[21:22]
	s_delay_alu instid0(VALU_DEP_2) | instskip(NEXT) | instid1(VALU_DEP_2)
	v_lshlrev_b64 v[23:24], 2, v[19:20]
	v_add_co_u32 v28, vcc_lo, s24, v28
	s_delay_alu instid0(VALU_DEP_3) | instskip(NEXT) | instid1(VALU_DEP_3)
	v_add_co_ci_u32_e32 v29, vcc_lo, s25, v29, vcc_lo
	v_add_co_u32 v30, vcc_lo, s14, v23
	s_delay_alu instid0(VALU_DEP_4)
	v_add_co_ci_u32_e32 v31, vcc_lo, s15, v24, vcc_lo
	global_load_b32 v20, v[28:29], off
	global_load_b32 v28, v[30:31], off
	s_waitcnt vmcnt(0)
	v_cmpx_eq_u32_e64 v20, v28
	s_cbranch_execz .LBB28_6
; %bb.8:                                ;   in Loop: Header=BB28_7 Depth=2
	v_add_co_u32 v23, vcc_lo, s16, v23
	v_add_co_ci_u32_e32 v24, vcc_lo, s17, v24, vcc_lo
	v_lshlrev_b64 v[29:30], 3, v[21:22]
	global_load_b32 v23, v[23:24], off
	v_add_co_u32 v29, vcc_lo, s18, v29
	v_add_co_ci_u32_e32 v30, vcc_lo, s19, v30, vcc_lo
	s_waitcnt vmcnt(0)
	v_ashrrev_i32_e32 v24, 31, v23
	s_delay_alu instid0(VALU_DEP_1) | instskip(NEXT) | instid1(VALU_DEP_1)
	v_lshlrev_b64 v[22:23], 3, v[23:24]
	v_add_co_u32 v22, vcc_lo, s18, v22
	s_delay_alu instid0(VALU_DEP_2)
	v_add_co_ci_u32_e32 v23, vcc_lo, s19, v23, vcc_lo
	s_clause 0x1
	global_load_b64 v[29:30], v[29:30], off
	global_load_b64 v[22:23], v[22:23], off
	s_waitcnt vmcnt(0)
	v_fma_f64 v[17:18], v[29:30], v[22:23], v[17:18]
	s_branch .LBB28_6
.LBB28_9:                               ;   in Loop: Header=BB28_4 Depth=1
	s_or_b32 exec_lo, exec_lo, s7
.LBB28_10:                              ;   in Loop: Header=BB28_4 Depth=1
	s_delay_alu instid0(SALU_CYCLE_1) | instskip(SKIP_3) | instid1(VALU_DEP_1)
	s_or_b32 exec_lo, exec_lo, s6
	s_waitcnt vmcnt(1)
	v_add_f64 v[15:16], v[15:16], -v[17:18]
	s_waitcnt vmcnt(0)
	v_div_scale_f64 v[17:18], null, v[13:14], v[13:14], v[15:16]
	v_div_scale_f64 v[23:24], vcc_lo, v[15:16], v[13:14], v[15:16]
	s_delay_alu instid0(VALU_DEP_2) | instskip(SKIP_2) | instid1(VALU_DEP_1)
	v_rcp_f64_e32 v[19:20], v[17:18]
	s_waitcnt_depctr 0xfff
	v_fma_f64 v[21:22], -v[17:18], v[19:20], 1.0
	v_fma_f64 v[19:20], v[19:20], v[21:22], v[19:20]
	s_delay_alu instid0(VALU_DEP_1) | instskip(NEXT) | instid1(VALU_DEP_1)
	v_fma_f64 v[21:22], -v[17:18], v[19:20], 1.0
	v_fma_f64 v[19:20], v[19:20], v[21:22], v[19:20]
	s_delay_alu instid0(VALU_DEP_1) | instskip(NEXT) | instid1(VALU_DEP_1)
	v_mul_f64 v[21:22], v[23:24], v[19:20]
	v_fma_f64 v[17:18], -v[17:18], v[21:22], v[23:24]
	s_delay_alu instid0(VALU_DEP_1) | instskip(SKIP_1) | instid1(VALU_DEP_2)
	v_div_fmas_f64 v[17:18], v[17:18], v[19:20], v[21:22]
	v_cmp_gt_i32_e32 vcc_lo, v1, v10
	v_div_fixup_f64 v[13:14], v[17:18], v[13:14], v[15:16]
	s_delay_alu instid0(VALU_DEP_1) | instskip(NEXT) | instid1(VALU_DEP_1)
	v_dual_cndmask_b32 v10, v16, v14 :: v_dual_cndmask_b32 v9, v15, v13
	v_cmp_class_f64_e64 s6, v[9:10], 0x1f8
	s_delay_alu instid0(VALU_DEP_1)
	s_and_saveexec_b32 s1, s6
	s_cbranch_execz .LBB28_3
; %bb.11:                               ;   in Loop: Header=BB28_4 Depth=1
	v_add_co_u32 v11, vcc_lo, s18, v11
	v_add_co_ci_u32_e32 v12, vcc_lo, s19, v12, vcc_lo
	global_store_b64 v[11:12], v[9:10], off
	s_branch .LBB28_3
.LBB28_12:
	s_or_b32 exec_lo, exec_lo, s4
	v_or_b32_e32 v17, 0x200, v1
	s_delay_alu instid0(VALU_DEP_1)
	v_cmp_gt_i32_e32 vcc_lo, s3, v17
	s_and_b32 exec_lo, exec_lo, vcc_lo
	s_cbranch_execz .LBB28_24
; %bb.13:
	global_load_b32 v1, v[4:5], off offset:2048
	global_load_b32 v4, v[6:7], off offset:2048
	s_waitcnt vmcnt(1)
	v_subrev_nc_u32_e32 v18, s2, v1
	s_waitcnt vmcnt(0)
	v_add_nc_u32_e32 v0, v0, v4
	s_delay_alu instid0(VALU_DEP_1)
	v_cmp_lt_i32_e32 vcc_lo, v0, v18
	s_and_b32 exec_lo, exec_lo, vcc_lo
	s_cbranch_execz .LBB28_24
; %bb.14:
	v_add_co_u32 v4, vcc_lo, s22, v2
	v_add_co_ci_u32_e32 v5, vcc_lo, s23, v3, vcc_lo
	v_add_co_u32 v1, vcc_lo, s20, v2
	v_add_co_ci_u32_e32 v2, vcc_lo, s21, v3, vcc_lo
	s_mov_b32 s3, 0
	global_load_b32 v3, v[4:5], off offset:2048
	global_load_b32 v1, v[1:2], off offset:2048
	s_waitcnt vmcnt(1)
	v_subrev_nc_u32_e32 v19, s2, v3
	s_waitcnt vmcnt(0)
	v_cmp_lt_i32_e64 s0, v1, v3
	v_subrev_nc_u32_e32 v20, s2, v1
	s_branch .LBB28_16
.LBB28_15:                              ;   in Loop: Header=BB28_16 Depth=1
	s_or_b32 exec_lo, exec_lo, s1
	v_add_nc_u32_e32 v0, 2, v0
	s_delay_alu instid0(VALU_DEP_1) | instskip(SKIP_1) | instid1(SALU_CYCLE_1)
	v_cmp_ge_i32_e32 vcc_lo, v0, v18
	s_or_b32 s3, vcc_lo, s3
	s_and_not1_b32 exec_lo, exec_lo, s3
	s_cbranch_execz .LBB28_24
.LBB28_16:                              ; =>This Loop Header: Depth=1
                                        ;     Child Loop BB28_19 Depth 2
	v_ashrrev_i32_e32 v1, 31, v0
	s_delay_alu instid0(VALU_DEP_1) | instskip(NEXT) | instid1(VALU_DEP_1)
	v_lshlrev_b64 v[2:3], 2, v[0:1]
	v_add_co_u32 v2, vcc_lo, s8, v2
	s_delay_alu instid0(VALU_DEP_2) | instskip(SKIP_3) | instid1(VALU_DEP_1)
	v_add_co_ci_u32_e32 v3, vcc_lo, s9, v3, vcc_lo
	global_load_b32 v2, v[2:3], off
	s_waitcnt vmcnt(0)
	v_subrev_nc_u32_e32 v2, s2, v2
	v_ashrrev_i32_e32 v3, 31, v2
	s_delay_alu instid0(VALU_DEP_1) | instskip(NEXT) | instid1(VALU_DEP_1)
	v_lshlrev_b64 v[5:6], 2, v[2:3]
	v_add_co_u32 v3, vcc_lo, s22, v5
	s_delay_alu instid0(VALU_DEP_2)
	v_add_co_ci_u32_e32 v4, vcc_lo, s23, v6, vcc_lo
	v_add_co_u32 v9, vcc_lo, s12, v5
	v_add_co_ci_u32_e32 v10, vcc_lo, s13, v6, vcc_lo
	global_load_b32 v7, v[3:4], off
	v_lshlrev_b64 v[3:4], 3, v[0:1]
	v_add_co_u32 v5, vcc_lo, s26, v5
	v_add_co_ci_u32_e32 v6, vcc_lo, s27, v6, vcc_lo
	global_load_b32 v1, v[9:10], off
	global_load_b32 v11, v[5:6], off
	v_add_co_u32 v12, vcc_lo, s10, v3
	v_add_co_ci_u32_e32 v13, vcc_lo, s11, v4, vcc_lo
	v_mov_b32_e32 v9, 0
	v_mov_b32_e32 v10, 0
	s_waitcnt vmcnt(2)
	v_subrev_nc_u32_e32 v7, s2, v7
	s_delay_alu instid0(VALU_DEP_1) | instskip(NEXT) | instid1(VALU_DEP_1)
	v_ashrrev_i32_e32 v8, 31, v7
	v_lshlrev_b64 v[7:8], 3, v[7:8]
	s_delay_alu instid0(VALU_DEP_1) | instskip(NEXT) | instid1(VALU_DEP_2)
	v_add_co_u32 v5, vcc_lo, s18, v7
	v_add_co_ci_u32_e32 v6, vcc_lo, s19, v8, vcc_lo
	s_waitcnt vmcnt(0)
	v_cmp_lt_i32_e32 vcc_lo, v11, v1
	global_load_b64 v[7:8], v[12:13], off
	global_load_b64 v[5:6], v[5:6], off
	s_and_b32 s1, s0, vcc_lo
	s_delay_alu instid0(SALU_CYCLE_1)
	s_and_saveexec_b32 s4, s1
	s_cbranch_execz .LBB28_22
; %bb.17:                               ;   in Loop: Header=BB28_16 Depth=1
	v_mov_b32_e32 v9, 0
	v_subrev_nc_u32_e32 v1, s2, v1
	v_subrev_nc_u32_e32 v11, s2, v11
	v_dual_mov_b32 v10, 0 :: v_dual_mov_b32 v13, v20
	s_mov_b32 s5, 0
	s_branch .LBB28_19
.LBB28_18:                              ;   in Loop: Header=BB28_19 Depth=2
	s_or_b32 exec_lo, exec_lo, s1
	v_cmp_le_i32_e32 vcc_lo, v12, v21
	v_add_co_ci_u32_e32 v13, vcc_lo, 0, v13, vcc_lo
	v_cmp_ge_i32_e32 vcc_lo, v12, v21
	v_add_co_ci_u32_e32 v11, vcc_lo, 0, v11, vcc_lo
	s_delay_alu instid0(VALU_DEP_3) | instskip(NEXT) | instid1(VALU_DEP_2)
	v_cmp_ge_i32_e32 vcc_lo, v13, v19
	v_cmp_ge_i32_e64 s1, v11, v1
	s_delay_alu instid0(VALU_DEP_1) | instskip(NEXT) | instid1(SALU_CYCLE_1)
	s_or_b32 s1, vcc_lo, s1
	s_and_b32 s1, exec_lo, s1
	s_delay_alu instid0(SALU_CYCLE_1) | instskip(NEXT) | instid1(SALU_CYCLE_1)
	s_or_b32 s5, s1, s5
	s_and_not1_b32 exec_lo, exec_lo, s5
	s_cbranch_execz .LBB28_21
.LBB28_19:                              ;   Parent Loop BB28_16 Depth=1
                                        ; =>  This Inner Loop Header: Depth=2
	s_delay_alu instid0(VALU_DEP_1) | instskip(SKIP_2) | instid1(VALU_DEP_2)
	v_ashrrev_i32_e32 v14, 31, v13
	v_ashrrev_i32_e32 v12, 31, v11
	s_mov_b32 s1, exec_lo
	v_lshlrev_b64 v[21:22], 2, v[13:14]
	s_delay_alu instid0(VALU_DEP_2) | instskip(NEXT) | instid1(VALU_DEP_2)
	v_lshlrev_b64 v[15:16], 2, v[11:12]
	v_add_co_u32 v21, vcc_lo, s24, v21
	s_delay_alu instid0(VALU_DEP_3) | instskip(NEXT) | instid1(VALU_DEP_3)
	v_add_co_ci_u32_e32 v22, vcc_lo, s25, v22, vcc_lo
	v_add_co_u32 v23, vcc_lo, s14, v15
	s_delay_alu instid0(VALU_DEP_4)
	v_add_co_ci_u32_e32 v24, vcc_lo, s15, v16, vcc_lo
	global_load_b32 v12, v[21:22], off
	global_load_b32 v21, v[23:24], off
	s_waitcnt vmcnt(0)
	v_cmpx_eq_u32_e64 v12, v21
	s_cbranch_execz .LBB28_18
; %bb.20:                               ;   in Loop: Header=BB28_19 Depth=2
	v_add_co_u32 v15, vcc_lo, s16, v15
	v_add_co_ci_u32_e32 v16, vcc_lo, s17, v16, vcc_lo
	v_lshlrev_b64 v[22:23], 3, v[13:14]
	global_load_b32 v15, v[15:16], off
	v_add_co_u32 v22, vcc_lo, s18, v22
	v_add_co_ci_u32_e32 v23, vcc_lo, s19, v23, vcc_lo
	s_waitcnt vmcnt(0)
	v_ashrrev_i32_e32 v16, 31, v15
	s_delay_alu instid0(VALU_DEP_1) | instskip(NEXT) | instid1(VALU_DEP_1)
	v_lshlrev_b64 v[14:15], 3, v[15:16]
	v_add_co_u32 v14, vcc_lo, s18, v14
	s_delay_alu instid0(VALU_DEP_2)
	v_add_co_ci_u32_e32 v15, vcc_lo, s19, v15, vcc_lo
	s_clause 0x1
	global_load_b64 v[22:23], v[22:23], off
	global_load_b64 v[14:15], v[14:15], off
	s_waitcnt vmcnt(0)
	v_fma_f64 v[9:10], v[22:23], v[14:15], v[9:10]
	s_branch .LBB28_18
.LBB28_21:                              ;   in Loop: Header=BB28_16 Depth=1
	s_or_b32 exec_lo, exec_lo, s5
.LBB28_22:                              ;   in Loop: Header=BB28_16 Depth=1
	s_delay_alu instid0(SALU_CYCLE_1) | instskip(SKIP_3) | instid1(VALU_DEP_1)
	s_or_b32 exec_lo, exec_lo, s4
	s_waitcnt vmcnt(1)
	v_add_f64 v[7:8], v[7:8], -v[9:10]
	s_waitcnt vmcnt(0)
	v_div_scale_f64 v[9:10], null, v[5:6], v[5:6], v[7:8]
	v_div_scale_f64 v[15:16], vcc_lo, v[7:8], v[5:6], v[7:8]
	s_delay_alu instid0(VALU_DEP_2) | instskip(SKIP_2) | instid1(VALU_DEP_1)
	v_rcp_f64_e32 v[11:12], v[9:10]
	s_waitcnt_depctr 0xfff
	v_fma_f64 v[13:14], -v[9:10], v[11:12], 1.0
	v_fma_f64 v[11:12], v[11:12], v[13:14], v[11:12]
	s_delay_alu instid0(VALU_DEP_1) | instskip(NEXT) | instid1(VALU_DEP_1)
	v_fma_f64 v[13:14], -v[9:10], v[11:12], 1.0
	v_fma_f64 v[11:12], v[11:12], v[13:14], v[11:12]
	s_delay_alu instid0(VALU_DEP_1) | instskip(NEXT) | instid1(VALU_DEP_1)
	v_mul_f64 v[13:14], v[15:16], v[11:12]
	v_fma_f64 v[9:10], -v[9:10], v[13:14], v[15:16]
	s_delay_alu instid0(VALU_DEP_1) | instskip(SKIP_1) | instid1(VALU_DEP_2)
	v_div_fmas_f64 v[9:10], v[9:10], v[11:12], v[13:14]
	v_cmp_gt_i32_e32 vcc_lo, v17, v2
	v_div_fixup_f64 v[5:6], v[9:10], v[5:6], v[7:8]
	s_delay_alu instid0(VALU_DEP_1) | instskip(NEXT) | instid1(VALU_DEP_1)
	v_dual_cndmask_b32 v2, v8, v6 :: v_dual_cndmask_b32 v1, v7, v5
	v_cmp_class_f64_e64 s4, v[1:2], 0x1f8
	s_delay_alu instid0(VALU_DEP_1)
	s_and_saveexec_b32 s1, s4
	s_cbranch_execz .LBB28_15
; %bb.23:                               ;   in Loop: Header=BB28_16 Depth=1
	v_add_co_u32 v3, vcc_lo, s18, v3
	v_add_co_ci_u32_e32 v4, vcc_lo, s19, v4, vcc_lo
	global_store_b64 v[3:4], v[1:2], off
	s_branch .LBB28_15
.LBB28_24:
	s_nop 0
	s_sendmsg sendmsg(MSG_DEALLOC_VGPRS)
	s_endpgm
	.section	.rodata,"a",@progbits
	.p2align	6, 0x0
	.amdhsa_kernel _ZN9rocsparseL16kernel_calculateILi1024ELi2ELb0EdiiEEvT4_T3_PKS2_S4_PKS1_PKT2_21rocsparse_index_base_S4_S4_S6_S4_S4_S6_S4_PS7_PNS_15floating_traitsIS7_E6data_tEPKSE_
		.amdhsa_group_segment_fixed_size 0
		.amdhsa_private_segment_fixed_size 0
		.amdhsa_kernarg_size 128
		.amdhsa_user_sgpr_count 15
		.amdhsa_user_sgpr_dispatch_ptr 0
		.amdhsa_user_sgpr_queue_ptr 0
		.amdhsa_user_sgpr_kernarg_segment_ptr 1
		.amdhsa_user_sgpr_dispatch_id 0
		.amdhsa_user_sgpr_private_segment_size 0
		.amdhsa_wavefront_size32 1
		.amdhsa_uses_dynamic_stack 0
		.amdhsa_enable_private_segment 0
		.amdhsa_system_sgpr_workgroup_id_x 1
		.amdhsa_system_sgpr_workgroup_id_y 0
		.amdhsa_system_sgpr_workgroup_id_z 0
		.amdhsa_system_sgpr_workgroup_info 0
		.amdhsa_system_vgpr_workitem_id 0
		.amdhsa_next_free_vgpr 32
		.amdhsa_next_free_sgpr 28
		.amdhsa_reserve_vcc 1
		.amdhsa_float_round_mode_32 0
		.amdhsa_float_round_mode_16_64 0
		.amdhsa_float_denorm_mode_32 3
		.amdhsa_float_denorm_mode_16_64 3
		.amdhsa_dx10_clamp 1
		.amdhsa_ieee_mode 1
		.amdhsa_fp16_overflow 0
		.amdhsa_workgroup_processor_mode 1
		.amdhsa_memory_ordered 1
		.amdhsa_forward_progress 0
		.amdhsa_shared_vgpr_count 0
		.amdhsa_exception_fp_ieee_invalid_op 0
		.amdhsa_exception_fp_denorm_src 0
		.amdhsa_exception_fp_ieee_div_zero 0
		.amdhsa_exception_fp_ieee_overflow 0
		.amdhsa_exception_fp_ieee_underflow 0
		.amdhsa_exception_fp_ieee_inexact 0
		.amdhsa_exception_int_div_zero 0
	.end_amdhsa_kernel
	.section	.text._ZN9rocsparseL16kernel_calculateILi1024ELi2ELb0EdiiEEvT4_T3_PKS2_S4_PKS1_PKT2_21rocsparse_index_base_S4_S4_S6_S4_S4_S6_S4_PS7_PNS_15floating_traitsIS7_E6data_tEPKSE_,"axG",@progbits,_ZN9rocsparseL16kernel_calculateILi1024ELi2ELb0EdiiEEvT4_T3_PKS2_S4_PKS1_PKT2_21rocsparse_index_base_S4_S4_S6_S4_S4_S6_S4_PS7_PNS_15floating_traitsIS7_E6data_tEPKSE_,comdat
.Lfunc_end28:
	.size	_ZN9rocsparseL16kernel_calculateILi1024ELi2ELb0EdiiEEvT4_T3_PKS2_S4_PKS1_PKT2_21rocsparse_index_base_S4_S4_S6_S4_S4_S6_S4_PS7_PNS_15floating_traitsIS7_E6data_tEPKSE_, .Lfunc_end28-_ZN9rocsparseL16kernel_calculateILi1024ELi2ELb0EdiiEEvT4_T3_PKS2_S4_PKS1_PKT2_21rocsparse_index_base_S4_S4_S6_S4_S4_S6_S4_PS7_PNS_15floating_traitsIS7_E6data_tEPKSE_
                                        ; -- End function
	.section	.AMDGPU.csdata,"",@progbits
; Kernel info:
; codeLenInByte = 1952
; NumSgprs: 30
; NumVgprs: 32
; ScratchSize: 0
; MemoryBound: 1
; FloatMode: 240
; IeeeMode: 1
; LDSByteSize: 0 bytes/workgroup (compile time only)
; SGPRBlocks: 3
; VGPRBlocks: 3
; NumSGPRsForWavesPerEU: 30
; NumVGPRsForWavesPerEU: 32
; Occupancy: 16
; WaveLimiterHint : 1
; COMPUTE_PGM_RSRC2:SCRATCH_EN: 0
; COMPUTE_PGM_RSRC2:USER_SGPR: 15
; COMPUTE_PGM_RSRC2:TRAP_HANDLER: 0
; COMPUTE_PGM_RSRC2:TGID_X_EN: 1
; COMPUTE_PGM_RSRC2:TGID_Y_EN: 0
; COMPUTE_PGM_RSRC2:TGID_Z_EN: 0
; COMPUTE_PGM_RSRC2:TIDIG_COMP_CNT: 0
	.section	.text._ZN9rocsparseL16kernel_calculateILi1024ELi4ELb0EdiiEEvT4_T3_PKS2_S4_PKS1_PKT2_21rocsparse_index_base_S4_S4_S6_S4_S4_S6_S4_PS7_PNS_15floating_traitsIS7_E6data_tEPKSE_,"axG",@progbits,_ZN9rocsparseL16kernel_calculateILi1024ELi4ELb0EdiiEEvT4_T3_PKS2_S4_PKS1_PKT2_21rocsparse_index_base_S4_S4_S6_S4_S4_S6_S4_PS7_PNS_15floating_traitsIS7_E6data_tEPKSE_,comdat
	.globl	_ZN9rocsparseL16kernel_calculateILi1024ELi4ELb0EdiiEEvT4_T3_PKS2_S4_PKS1_PKT2_21rocsparse_index_base_S4_S4_S6_S4_S4_S6_S4_PS7_PNS_15floating_traitsIS7_E6data_tEPKSE_ ; -- Begin function _ZN9rocsparseL16kernel_calculateILi1024ELi4ELb0EdiiEEvT4_T3_PKS2_S4_PKS1_PKT2_21rocsparse_index_base_S4_S4_S6_S4_S4_S6_S4_PS7_PNS_15floating_traitsIS7_E6data_tEPKSE_
	.p2align	8
	.type	_ZN9rocsparseL16kernel_calculateILi1024ELi4ELb0EdiiEEvT4_T3_PKS2_S4_PKS1_PKT2_21rocsparse_index_base_S4_S4_S6_S4_S4_S6_S4_PS7_PNS_15floating_traitsIS7_E6data_tEPKSE_,@function
_ZN9rocsparseL16kernel_calculateILi1024ELi4ELb0EdiiEEvT4_T3_PKS2_S4_PKS1_PKT2_21rocsparse_index_base_S4_S4_S6_S4_S4_S6_S4_PS7_PNS_15floating_traitsIS7_E6data_tEPKSE_: ; @_ZN9rocsparseL16kernel_calculateILi1024ELi4ELb0EdiiEEvT4_T3_PKS2_S4_PKS1_PKT2_21rocsparse_index_base_S4_S4_S6_S4_S4_S6_S4_PS7_PNS_15floating_traitsIS7_E6data_tEPKSE_
; %bb.0:
	s_load_b32 s2, s[0:1], 0x0
	v_lshrrev_b32_e32 v1, 2, v0
	s_mov_b32 s3, exec_lo
	s_delay_alu instid0(VALU_DEP_1) | instskip(SKIP_1) | instid1(VALU_DEP_1)
	v_lshl_or_b32 v18, s15, 10, v1
	s_waitcnt lgkmcnt(0)
	v_cmpx_gt_i32_e64 s2, v18
	s_cbranch_execz .LBB29_15
; %bb.1:
	s_clause 0x3
	s_load_b32 s3, s[0:1], 0x28
	s_load_b256 s[4:11], s[0:1], 0x50
	s_load_b256 s[12:19], s[0:1], 0x30
	;; [unrolled: 1-line block ×3, first 2 shown]
	v_and_b32_e32 v0, 3, v0
	s_mov_b32 s28, 0
	s_waitcnt lgkmcnt(0)
	s_delay_alu instid0(VALU_DEP_1)
	v_subrev_nc_u32_e32 v19, s3, v0
	s_branch .LBB29_3
.LBB29_2:                               ;   in Loop: Header=BB29_3 Depth=1
	s_or_b32 exec_lo, exec_lo, s29
	s_add_i32 s28, s28, 1
	s_delay_alu instid0(SALU_CYCLE_1)
	s_cmp_lg_u32 s28, 4
	s_cbranch_scc0 .LBB29_15
.LBB29_3:                               ; =>This Loop Header: Depth=1
                                        ;     Child Loop BB29_7 Depth 2
                                        ;       Child Loop BB29_10 Depth 3
	v_lshl_add_u32 v0, s28, 8, v18
	s_mov_b32 s29, exec_lo
	s_delay_alu instid0(VALU_DEP_1)
	v_cmpx_gt_i32_e64 s2, v0
	s_cbranch_execz .LBB29_2
; %bb.4:                                ;   in Loop: Header=BB29_3 Depth=1
	v_ashrrev_i32_e32 v1, 31, v0
	s_delay_alu instid0(VALU_DEP_1) | instskip(NEXT) | instid1(VALU_DEP_1)
	v_lshlrev_b64 v[2:3], 2, v[0:1]
	v_add_co_u32 v4, vcc_lo, s22, v2
	s_delay_alu instid0(VALU_DEP_2)
	v_add_co_ci_u32_e32 v5, vcc_lo, s23, v3, vcc_lo
	v_add_co_u32 v6, vcc_lo, s20, v2
	v_add_co_ci_u32_e32 v7, vcc_lo, s21, v3, vcc_lo
	global_load_b32 v1, v[4:5], off
	global_load_b32 v4, v[6:7], off
	s_waitcnt vmcnt(1)
	v_subrev_nc_u32_e32 v20, s3, v1
	s_waitcnt vmcnt(0)
	v_add_nc_u32_e32 v1, v19, v4
	s_delay_alu instid0(VALU_DEP_1)
	v_cmp_lt_i32_e32 vcc_lo, v1, v20
	s_and_b32 exec_lo, exec_lo, vcc_lo
	s_cbranch_execz .LBB29_2
; %bb.5:                                ;   in Loop: Header=BB29_3 Depth=1
	v_add_co_u32 v4, vcc_lo, s14, v2
	v_add_co_ci_u32_e32 v5, vcc_lo, s15, v3, vcc_lo
	v_add_co_u32 v2, vcc_lo, s12, v2
	v_add_co_ci_u32_e32 v3, vcc_lo, s13, v3, vcc_lo
	s_mov_b32 s30, 0
	global_load_b32 v4, v[4:5], off
	global_load_b32 v2, v[2:3], off
	s_waitcnt vmcnt(1)
	v_subrev_nc_u32_e32 v21, s3, v4
	s_waitcnt vmcnt(0)
	v_cmp_lt_i32_e64 s0, v2, v4
	v_subrev_nc_u32_e32 v22, s3, v2
	s_branch .LBB29_7
.LBB29_6:                               ;   in Loop: Header=BB29_7 Depth=2
	s_or_b32 exec_lo, exec_lo, s1
	v_add_nc_u32_e32 v1, 4, v1
	s_delay_alu instid0(VALU_DEP_1) | instskip(SKIP_1) | instid1(SALU_CYCLE_1)
	v_cmp_ge_i32_e32 vcc_lo, v1, v20
	s_or_b32 s30, vcc_lo, s30
	s_and_not1_b32 exec_lo, exec_lo, s30
	s_cbranch_execz .LBB29_2
.LBB29_7:                               ;   Parent Loop BB29_3 Depth=1
                                        ; =>  This Loop Header: Depth=2
                                        ;       Child Loop BB29_10 Depth 3
	v_ashrrev_i32_e32 v2, 31, v1
	s_delay_alu instid0(VALU_DEP_1) | instskip(NEXT) | instid1(VALU_DEP_1)
	v_lshlrev_b64 v[3:4], 2, v[1:2]
	v_add_co_u32 v3, vcc_lo, s24, v3
	s_delay_alu instid0(VALU_DEP_2) | instskip(SKIP_3) | instid1(VALU_DEP_1)
	v_add_co_ci_u32_e32 v4, vcc_lo, s25, v4, vcc_lo
	global_load_b32 v3, v[3:4], off
	s_waitcnt vmcnt(0)
	v_subrev_nc_u32_e32 v3, s3, v3
	v_ashrrev_i32_e32 v4, 31, v3
	s_delay_alu instid0(VALU_DEP_1) | instskip(NEXT) | instid1(VALU_DEP_1)
	v_lshlrev_b64 v[6:7], 2, v[3:4]
	v_add_co_u32 v4, vcc_lo, s14, v6
	s_delay_alu instid0(VALU_DEP_2)
	v_add_co_ci_u32_e32 v5, vcc_lo, s15, v7, vcc_lo
	v_add_co_u32 v10, vcc_lo, s4, v6
	v_add_co_ci_u32_e32 v11, vcc_lo, s5, v7, vcc_lo
	global_load_b32 v8, v[4:5], off
	v_lshlrev_b64 v[4:5], 3, v[1:2]
	v_add_co_u32 v6, vcc_lo, s18, v6
	v_add_co_ci_u32_e32 v7, vcc_lo, s19, v7, vcc_lo
	global_load_b32 v2, v[10:11], off
	global_load_b32 v12, v[6:7], off
	v_add_co_u32 v13, vcc_lo, s26, v4
	v_add_co_ci_u32_e32 v14, vcc_lo, s27, v5, vcc_lo
	v_mov_b32_e32 v10, 0
	v_mov_b32_e32 v11, 0
	s_waitcnt vmcnt(2)
	v_subrev_nc_u32_e32 v8, s3, v8
	s_delay_alu instid0(VALU_DEP_1) | instskip(NEXT) | instid1(VALU_DEP_1)
	v_ashrrev_i32_e32 v9, 31, v8
	v_lshlrev_b64 v[8:9], 3, v[8:9]
	s_delay_alu instid0(VALU_DEP_1) | instskip(NEXT) | instid1(VALU_DEP_2)
	v_add_co_u32 v6, vcc_lo, s10, v8
	v_add_co_ci_u32_e32 v7, vcc_lo, s11, v9, vcc_lo
	s_waitcnt vmcnt(0)
	v_cmp_lt_i32_e32 vcc_lo, v12, v2
	global_load_b64 v[8:9], v[13:14], off
	global_load_b64 v[6:7], v[6:7], off
	s_and_b32 s1, s0, vcc_lo
	s_delay_alu instid0(SALU_CYCLE_1)
	s_and_saveexec_b32 s31, s1
	s_cbranch_execz .LBB29_13
; %bb.8:                                ;   in Loop: Header=BB29_7 Depth=2
	v_mov_b32_e32 v10, 0
	v_subrev_nc_u32_e32 v2, s3, v2
	v_subrev_nc_u32_e32 v12, s3, v12
	v_dual_mov_b32 v11, 0 :: v_dual_mov_b32 v14, v22
	s_mov_b32 s33, 0
	s_branch .LBB29_10
.LBB29_9:                               ;   in Loop: Header=BB29_10 Depth=3
	s_or_b32 exec_lo, exec_lo, s1
	v_cmp_le_i32_e32 vcc_lo, v13, v23
	v_add_co_ci_u32_e32 v14, vcc_lo, 0, v14, vcc_lo
	v_cmp_ge_i32_e32 vcc_lo, v13, v23
	v_add_co_ci_u32_e32 v12, vcc_lo, 0, v12, vcc_lo
	s_delay_alu instid0(VALU_DEP_3) | instskip(NEXT) | instid1(VALU_DEP_2)
	v_cmp_ge_i32_e32 vcc_lo, v14, v21
	v_cmp_ge_i32_e64 s1, v12, v2
	s_delay_alu instid0(VALU_DEP_1) | instskip(NEXT) | instid1(SALU_CYCLE_1)
	s_or_b32 s1, vcc_lo, s1
	s_and_b32 s1, exec_lo, s1
	s_delay_alu instid0(SALU_CYCLE_1) | instskip(NEXT) | instid1(SALU_CYCLE_1)
	s_or_b32 s33, s1, s33
	s_and_not1_b32 exec_lo, exec_lo, s33
	s_cbranch_execz .LBB29_12
.LBB29_10:                              ;   Parent Loop BB29_3 Depth=1
                                        ;     Parent Loop BB29_7 Depth=2
                                        ; =>    This Inner Loop Header: Depth=3
	s_delay_alu instid0(VALU_DEP_1) | instskip(SKIP_2) | instid1(VALU_DEP_2)
	v_ashrrev_i32_e32 v15, 31, v14
	v_ashrrev_i32_e32 v13, 31, v12
	s_mov_b32 s1, exec_lo
	v_lshlrev_b64 v[23:24], 2, v[14:15]
	s_delay_alu instid0(VALU_DEP_2) | instskip(NEXT) | instid1(VALU_DEP_2)
	v_lshlrev_b64 v[16:17], 2, v[12:13]
	v_add_co_u32 v23, vcc_lo, s16, v23
	s_delay_alu instid0(VALU_DEP_3) | instskip(NEXT) | instid1(VALU_DEP_3)
	v_add_co_ci_u32_e32 v24, vcc_lo, s17, v24, vcc_lo
	v_add_co_u32 v25, vcc_lo, s6, v16
	s_delay_alu instid0(VALU_DEP_4)
	v_add_co_ci_u32_e32 v26, vcc_lo, s7, v17, vcc_lo
	global_load_b32 v13, v[23:24], off
	global_load_b32 v23, v[25:26], off
	s_waitcnt vmcnt(0)
	v_cmpx_eq_u32_e64 v13, v23
	s_cbranch_execz .LBB29_9
; %bb.11:                               ;   in Loop: Header=BB29_10 Depth=3
	v_add_co_u32 v16, vcc_lo, s8, v16
	v_add_co_ci_u32_e32 v17, vcc_lo, s9, v17, vcc_lo
	v_lshlrev_b64 v[24:25], 3, v[14:15]
	global_load_b32 v16, v[16:17], off
	v_add_co_u32 v24, vcc_lo, s10, v24
	v_add_co_ci_u32_e32 v25, vcc_lo, s11, v25, vcc_lo
	s_waitcnt vmcnt(0)
	v_ashrrev_i32_e32 v17, 31, v16
	s_delay_alu instid0(VALU_DEP_1) | instskip(NEXT) | instid1(VALU_DEP_1)
	v_lshlrev_b64 v[15:16], 3, v[16:17]
	v_add_co_u32 v15, vcc_lo, s10, v15
	s_delay_alu instid0(VALU_DEP_2)
	v_add_co_ci_u32_e32 v16, vcc_lo, s11, v16, vcc_lo
	s_clause 0x1
	global_load_b64 v[24:25], v[24:25], off
	global_load_b64 v[15:16], v[15:16], off
	s_waitcnt vmcnt(0)
	v_fma_f64 v[10:11], v[24:25], v[15:16], v[10:11]
	s_branch .LBB29_9
.LBB29_12:                              ;   in Loop: Header=BB29_7 Depth=2
	s_or_b32 exec_lo, exec_lo, s33
.LBB29_13:                              ;   in Loop: Header=BB29_7 Depth=2
	s_delay_alu instid0(SALU_CYCLE_1) | instskip(SKIP_3) | instid1(VALU_DEP_1)
	s_or_b32 exec_lo, exec_lo, s31
	s_waitcnt vmcnt(1)
	v_add_f64 v[8:9], v[8:9], -v[10:11]
	s_waitcnt vmcnt(0)
	v_div_scale_f64 v[10:11], null, v[6:7], v[6:7], v[8:9]
	v_div_scale_f64 v[16:17], vcc_lo, v[8:9], v[6:7], v[8:9]
	s_delay_alu instid0(VALU_DEP_2) | instskip(SKIP_2) | instid1(VALU_DEP_1)
	v_rcp_f64_e32 v[12:13], v[10:11]
	s_waitcnt_depctr 0xfff
	v_fma_f64 v[14:15], -v[10:11], v[12:13], 1.0
	v_fma_f64 v[12:13], v[12:13], v[14:15], v[12:13]
	s_delay_alu instid0(VALU_DEP_1) | instskip(NEXT) | instid1(VALU_DEP_1)
	v_fma_f64 v[14:15], -v[10:11], v[12:13], 1.0
	v_fma_f64 v[12:13], v[12:13], v[14:15], v[12:13]
	s_delay_alu instid0(VALU_DEP_1) | instskip(NEXT) | instid1(VALU_DEP_1)
	v_mul_f64 v[14:15], v[16:17], v[12:13]
	v_fma_f64 v[10:11], -v[10:11], v[14:15], v[16:17]
	s_delay_alu instid0(VALU_DEP_1) | instskip(SKIP_1) | instid1(VALU_DEP_2)
	v_div_fmas_f64 v[10:11], v[10:11], v[12:13], v[14:15]
	v_cmp_gt_i32_e32 vcc_lo, v0, v3
	v_div_fixup_f64 v[6:7], v[10:11], v[6:7], v[8:9]
	s_delay_alu instid0(VALU_DEP_1) | instskip(NEXT) | instid1(VALU_DEP_1)
	v_dual_cndmask_b32 v3, v9, v7 :: v_dual_cndmask_b32 v2, v8, v6
	v_cmp_class_f64_e64 s31, v[2:3], 0x1f8
	s_delay_alu instid0(VALU_DEP_1)
	s_and_saveexec_b32 s1, s31
	s_cbranch_execz .LBB29_6
; %bb.14:                               ;   in Loop: Header=BB29_7 Depth=2
	v_add_co_u32 v4, vcc_lo, s10, v4
	v_add_co_ci_u32_e32 v5, vcc_lo, s11, v5, vcc_lo
	global_store_b64 v[4:5], v[2:3], off
	s_branch .LBB29_6
.LBB29_15:
	s_nop 0
	s_sendmsg sendmsg(MSG_DEALLOC_VGPRS)
	s_endpgm
	.section	.rodata,"a",@progbits
	.p2align	6, 0x0
	.amdhsa_kernel _ZN9rocsparseL16kernel_calculateILi1024ELi4ELb0EdiiEEvT4_T3_PKS2_S4_PKS1_PKT2_21rocsparse_index_base_S4_S4_S6_S4_S4_S6_S4_PS7_PNS_15floating_traitsIS7_E6data_tEPKSE_
		.amdhsa_group_segment_fixed_size 0
		.amdhsa_private_segment_fixed_size 0
		.amdhsa_kernarg_size 128
		.amdhsa_user_sgpr_count 15
		.amdhsa_user_sgpr_dispatch_ptr 0
		.amdhsa_user_sgpr_queue_ptr 0
		.amdhsa_user_sgpr_kernarg_segment_ptr 1
		.amdhsa_user_sgpr_dispatch_id 0
		.amdhsa_user_sgpr_private_segment_size 0
		.amdhsa_wavefront_size32 1
		.amdhsa_uses_dynamic_stack 0
		.amdhsa_enable_private_segment 0
		.amdhsa_system_sgpr_workgroup_id_x 1
		.amdhsa_system_sgpr_workgroup_id_y 0
		.amdhsa_system_sgpr_workgroup_id_z 0
		.amdhsa_system_sgpr_workgroup_info 0
		.amdhsa_system_vgpr_workitem_id 0
		.amdhsa_next_free_vgpr 27
		.amdhsa_next_free_sgpr 34
		.amdhsa_reserve_vcc 1
		.amdhsa_float_round_mode_32 0
		.amdhsa_float_round_mode_16_64 0
		.amdhsa_float_denorm_mode_32 3
		.amdhsa_float_denorm_mode_16_64 3
		.amdhsa_dx10_clamp 1
		.amdhsa_ieee_mode 1
		.amdhsa_fp16_overflow 0
		.amdhsa_workgroup_processor_mode 1
		.amdhsa_memory_ordered 1
		.amdhsa_forward_progress 0
		.amdhsa_shared_vgpr_count 0
		.amdhsa_exception_fp_ieee_invalid_op 0
		.amdhsa_exception_fp_denorm_src 0
		.amdhsa_exception_fp_ieee_div_zero 0
		.amdhsa_exception_fp_ieee_overflow 0
		.amdhsa_exception_fp_ieee_underflow 0
		.amdhsa_exception_fp_ieee_inexact 0
		.amdhsa_exception_int_div_zero 0
	.end_amdhsa_kernel
	.section	.text._ZN9rocsparseL16kernel_calculateILi1024ELi4ELb0EdiiEEvT4_T3_PKS2_S4_PKS1_PKT2_21rocsparse_index_base_S4_S4_S6_S4_S4_S6_S4_PS7_PNS_15floating_traitsIS7_E6data_tEPKSE_,"axG",@progbits,_ZN9rocsparseL16kernel_calculateILi1024ELi4ELb0EdiiEEvT4_T3_PKS2_S4_PKS1_PKT2_21rocsparse_index_base_S4_S4_S6_S4_S4_S6_S4_PS7_PNS_15floating_traitsIS7_E6data_tEPKSE_,comdat
.Lfunc_end29:
	.size	_ZN9rocsparseL16kernel_calculateILi1024ELi4ELb0EdiiEEvT4_T3_PKS2_S4_PKS1_PKT2_21rocsparse_index_base_S4_S4_S6_S4_S4_S6_S4_PS7_PNS_15floating_traitsIS7_E6data_tEPKSE_, .Lfunc_end29-_ZN9rocsparseL16kernel_calculateILi1024ELi4ELb0EdiiEEvT4_T3_PKS2_S4_PKS1_PKT2_21rocsparse_index_base_S4_S4_S6_S4_S4_S6_S4_PS7_PNS_15floating_traitsIS7_E6data_tEPKSE_
                                        ; -- End function
	.section	.AMDGPU.csdata,"",@progbits
; Kernel info:
; codeLenInByte = 1092
; NumSgprs: 36
; NumVgprs: 27
; ScratchSize: 0
; MemoryBound: 1
; FloatMode: 240
; IeeeMode: 1
; LDSByteSize: 0 bytes/workgroup (compile time only)
; SGPRBlocks: 4
; VGPRBlocks: 3
; NumSGPRsForWavesPerEU: 36
; NumVGPRsForWavesPerEU: 27
; Occupancy: 16
; WaveLimiterHint : 1
; COMPUTE_PGM_RSRC2:SCRATCH_EN: 0
; COMPUTE_PGM_RSRC2:USER_SGPR: 15
; COMPUTE_PGM_RSRC2:TRAP_HANDLER: 0
; COMPUTE_PGM_RSRC2:TGID_X_EN: 1
; COMPUTE_PGM_RSRC2:TGID_Y_EN: 0
; COMPUTE_PGM_RSRC2:TGID_Z_EN: 0
; COMPUTE_PGM_RSRC2:TIDIG_COMP_CNT: 0
	.section	.text._ZN9rocsparseL16kernel_calculateILi1024ELi8ELb0EdiiEEvT4_T3_PKS2_S4_PKS1_PKT2_21rocsparse_index_base_S4_S4_S6_S4_S4_S6_S4_PS7_PNS_15floating_traitsIS7_E6data_tEPKSE_,"axG",@progbits,_ZN9rocsparseL16kernel_calculateILi1024ELi8ELb0EdiiEEvT4_T3_PKS2_S4_PKS1_PKT2_21rocsparse_index_base_S4_S4_S6_S4_S4_S6_S4_PS7_PNS_15floating_traitsIS7_E6data_tEPKSE_,comdat
	.globl	_ZN9rocsparseL16kernel_calculateILi1024ELi8ELb0EdiiEEvT4_T3_PKS2_S4_PKS1_PKT2_21rocsparse_index_base_S4_S4_S6_S4_S4_S6_S4_PS7_PNS_15floating_traitsIS7_E6data_tEPKSE_ ; -- Begin function _ZN9rocsparseL16kernel_calculateILi1024ELi8ELb0EdiiEEvT4_T3_PKS2_S4_PKS1_PKT2_21rocsparse_index_base_S4_S4_S6_S4_S4_S6_S4_PS7_PNS_15floating_traitsIS7_E6data_tEPKSE_
	.p2align	8
	.type	_ZN9rocsparseL16kernel_calculateILi1024ELi8ELb0EdiiEEvT4_T3_PKS2_S4_PKS1_PKT2_21rocsparse_index_base_S4_S4_S6_S4_S4_S6_S4_PS7_PNS_15floating_traitsIS7_E6data_tEPKSE_,@function
_ZN9rocsparseL16kernel_calculateILi1024ELi8ELb0EdiiEEvT4_T3_PKS2_S4_PKS1_PKT2_21rocsparse_index_base_S4_S4_S6_S4_S4_S6_S4_PS7_PNS_15floating_traitsIS7_E6data_tEPKSE_: ; @_ZN9rocsparseL16kernel_calculateILi1024ELi8ELb0EdiiEEvT4_T3_PKS2_S4_PKS1_PKT2_21rocsparse_index_base_S4_S4_S6_S4_S4_S6_S4_PS7_PNS_15floating_traitsIS7_E6data_tEPKSE_
; %bb.0:
	s_load_b32 s2, s[0:1], 0x0
	v_lshrrev_b32_e32 v1, 3, v0
	s_mov_b32 s3, exec_lo
	s_delay_alu instid0(VALU_DEP_1) | instskip(SKIP_1) | instid1(VALU_DEP_1)
	v_lshl_or_b32 v18, s15, 10, v1
	s_waitcnt lgkmcnt(0)
	v_cmpx_gt_i32_e64 s2, v18
	s_cbranch_execz .LBB30_15
; %bb.1:
	s_clause 0x3
	s_load_b32 s3, s[0:1], 0x28
	s_load_b256 s[4:11], s[0:1], 0x50
	s_load_b256 s[12:19], s[0:1], 0x30
	;; [unrolled: 1-line block ×3, first 2 shown]
	v_and_b32_e32 v0, 7, v0
	s_mov_b32 s28, 0
	s_waitcnt lgkmcnt(0)
	s_delay_alu instid0(VALU_DEP_1)
	v_subrev_nc_u32_e32 v19, s3, v0
	s_branch .LBB30_3
.LBB30_2:                               ;   in Loop: Header=BB30_3 Depth=1
	s_or_b32 exec_lo, exec_lo, s29
	s_add_i32 s28, s28, 1
	s_delay_alu instid0(SALU_CYCLE_1)
	s_cmp_lg_u32 s28, 8
	s_cbranch_scc0 .LBB30_15
.LBB30_3:                               ; =>This Loop Header: Depth=1
                                        ;     Child Loop BB30_7 Depth 2
                                        ;       Child Loop BB30_10 Depth 3
	v_lshl_add_u32 v0, s28, 7, v18
	s_mov_b32 s29, exec_lo
	s_delay_alu instid0(VALU_DEP_1)
	v_cmpx_gt_i32_e64 s2, v0
	s_cbranch_execz .LBB30_2
; %bb.4:                                ;   in Loop: Header=BB30_3 Depth=1
	v_ashrrev_i32_e32 v1, 31, v0
	s_delay_alu instid0(VALU_DEP_1) | instskip(NEXT) | instid1(VALU_DEP_1)
	v_lshlrev_b64 v[2:3], 2, v[0:1]
	v_add_co_u32 v4, vcc_lo, s22, v2
	s_delay_alu instid0(VALU_DEP_2)
	v_add_co_ci_u32_e32 v5, vcc_lo, s23, v3, vcc_lo
	v_add_co_u32 v6, vcc_lo, s20, v2
	v_add_co_ci_u32_e32 v7, vcc_lo, s21, v3, vcc_lo
	global_load_b32 v1, v[4:5], off
	global_load_b32 v4, v[6:7], off
	s_waitcnt vmcnt(1)
	v_subrev_nc_u32_e32 v20, s3, v1
	s_waitcnt vmcnt(0)
	v_add_nc_u32_e32 v1, v19, v4
	s_delay_alu instid0(VALU_DEP_1)
	v_cmp_lt_i32_e32 vcc_lo, v1, v20
	s_and_b32 exec_lo, exec_lo, vcc_lo
	s_cbranch_execz .LBB30_2
; %bb.5:                                ;   in Loop: Header=BB30_3 Depth=1
	v_add_co_u32 v4, vcc_lo, s14, v2
	v_add_co_ci_u32_e32 v5, vcc_lo, s15, v3, vcc_lo
	v_add_co_u32 v2, vcc_lo, s12, v2
	v_add_co_ci_u32_e32 v3, vcc_lo, s13, v3, vcc_lo
	s_mov_b32 s30, 0
	global_load_b32 v4, v[4:5], off
	global_load_b32 v2, v[2:3], off
	s_waitcnt vmcnt(1)
	v_subrev_nc_u32_e32 v21, s3, v4
	s_waitcnt vmcnt(0)
	v_cmp_lt_i32_e64 s0, v2, v4
	v_subrev_nc_u32_e32 v22, s3, v2
	s_branch .LBB30_7
.LBB30_6:                               ;   in Loop: Header=BB30_7 Depth=2
	s_or_b32 exec_lo, exec_lo, s1
	v_add_nc_u32_e32 v1, 8, v1
	s_delay_alu instid0(VALU_DEP_1) | instskip(SKIP_1) | instid1(SALU_CYCLE_1)
	v_cmp_ge_i32_e32 vcc_lo, v1, v20
	s_or_b32 s30, vcc_lo, s30
	s_and_not1_b32 exec_lo, exec_lo, s30
	s_cbranch_execz .LBB30_2
.LBB30_7:                               ;   Parent Loop BB30_3 Depth=1
                                        ; =>  This Loop Header: Depth=2
                                        ;       Child Loop BB30_10 Depth 3
	v_ashrrev_i32_e32 v2, 31, v1
	s_delay_alu instid0(VALU_DEP_1) | instskip(NEXT) | instid1(VALU_DEP_1)
	v_lshlrev_b64 v[3:4], 2, v[1:2]
	v_add_co_u32 v3, vcc_lo, s24, v3
	s_delay_alu instid0(VALU_DEP_2) | instskip(SKIP_3) | instid1(VALU_DEP_1)
	v_add_co_ci_u32_e32 v4, vcc_lo, s25, v4, vcc_lo
	global_load_b32 v3, v[3:4], off
	s_waitcnt vmcnt(0)
	v_subrev_nc_u32_e32 v3, s3, v3
	v_ashrrev_i32_e32 v4, 31, v3
	s_delay_alu instid0(VALU_DEP_1) | instskip(NEXT) | instid1(VALU_DEP_1)
	v_lshlrev_b64 v[6:7], 2, v[3:4]
	v_add_co_u32 v4, vcc_lo, s14, v6
	s_delay_alu instid0(VALU_DEP_2)
	v_add_co_ci_u32_e32 v5, vcc_lo, s15, v7, vcc_lo
	v_add_co_u32 v10, vcc_lo, s4, v6
	v_add_co_ci_u32_e32 v11, vcc_lo, s5, v7, vcc_lo
	global_load_b32 v8, v[4:5], off
	v_lshlrev_b64 v[4:5], 3, v[1:2]
	v_add_co_u32 v6, vcc_lo, s18, v6
	v_add_co_ci_u32_e32 v7, vcc_lo, s19, v7, vcc_lo
	global_load_b32 v2, v[10:11], off
	global_load_b32 v12, v[6:7], off
	v_add_co_u32 v13, vcc_lo, s26, v4
	v_add_co_ci_u32_e32 v14, vcc_lo, s27, v5, vcc_lo
	v_mov_b32_e32 v10, 0
	v_mov_b32_e32 v11, 0
	s_waitcnt vmcnt(2)
	v_subrev_nc_u32_e32 v8, s3, v8
	s_delay_alu instid0(VALU_DEP_1) | instskip(NEXT) | instid1(VALU_DEP_1)
	v_ashrrev_i32_e32 v9, 31, v8
	v_lshlrev_b64 v[8:9], 3, v[8:9]
	s_delay_alu instid0(VALU_DEP_1) | instskip(NEXT) | instid1(VALU_DEP_2)
	v_add_co_u32 v6, vcc_lo, s10, v8
	v_add_co_ci_u32_e32 v7, vcc_lo, s11, v9, vcc_lo
	s_waitcnt vmcnt(0)
	v_cmp_lt_i32_e32 vcc_lo, v12, v2
	global_load_b64 v[8:9], v[13:14], off
	global_load_b64 v[6:7], v[6:7], off
	s_and_b32 s1, s0, vcc_lo
	s_delay_alu instid0(SALU_CYCLE_1)
	s_and_saveexec_b32 s31, s1
	s_cbranch_execz .LBB30_13
; %bb.8:                                ;   in Loop: Header=BB30_7 Depth=2
	v_mov_b32_e32 v10, 0
	v_subrev_nc_u32_e32 v2, s3, v2
	v_subrev_nc_u32_e32 v12, s3, v12
	v_dual_mov_b32 v11, 0 :: v_dual_mov_b32 v14, v22
	s_mov_b32 s33, 0
	s_branch .LBB30_10
.LBB30_9:                               ;   in Loop: Header=BB30_10 Depth=3
	s_or_b32 exec_lo, exec_lo, s1
	v_cmp_le_i32_e32 vcc_lo, v13, v23
	v_add_co_ci_u32_e32 v14, vcc_lo, 0, v14, vcc_lo
	v_cmp_ge_i32_e32 vcc_lo, v13, v23
	v_add_co_ci_u32_e32 v12, vcc_lo, 0, v12, vcc_lo
	s_delay_alu instid0(VALU_DEP_3) | instskip(NEXT) | instid1(VALU_DEP_2)
	v_cmp_ge_i32_e32 vcc_lo, v14, v21
	v_cmp_ge_i32_e64 s1, v12, v2
	s_delay_alu instid0(VALU_DEP_1) | instskip(NEXT) | instid1(SALU_CYCLE_1)
	s_or_b32 s1, vcc_lo, s1
	s_and_b32 s1, exec_lo, s1
	s_delay_alu instid0(SALU_CYCLE_1) | instskip(NEXT) | instid1(SALU_CYCLE_1)
	s_or_b32 s33, s1, s33
	s_and_not1_b32 exec_lo, exec_lo, s33
	s_cbranch_execz .LBB30_12
.LBB30_10:                              ;   Parent Loop BB30_3 Depth=1
                                        ;     Parent Loop BB30_7 Depth=2
                                        ; =>    This Inner Loop Header: Depth=3
	s_delay_alu instid0(VALU_DEP_1) | instskip(SKIP_2) | instid1(VALU_DEP_2)
	v_ashrrev_i32_e32 v15, 31, v14
	v_ashrrev_i32_e32 v13, 31, v12
	s_mov_b32 s1, exec_lo
	v_lshlrev_b64 v[23:24], 2, v[14:15]
	s_delay_alu instid0(VALU_DEP_2) | instskip(NEXT) | instid1(VALU_DEP_2)
	v_lshlrev_b64 v[16:17], 2, v[12:13]
	v_add_co_u32 v23, vcc_lo, s16, v23
	s_delay_alu instid0(VALU_DEP_3) | instskip(NEXT) | instid1(VALU_DEP_3)
	v_add_co_ci_u32_e32 v24, vcc_lo, s17, v24, vcc_lo
	v_add_co_u32 v25, vcc_lo, s6, v16
	s_delay_alu instid0(VALU_DEP_4)
	v_add_co_ci_u32_e32 v26, vcc_lo, s7, v17, vcc_lo
	global_load_b32 v13, v[23:24], off
	global_load_b32 v23, v[25:26], off
	s_waitcnt vmcnt(0)
	v_cmpx_eq_u32_e64 v13, v23
	s_cbranch_execz .LBB30_9
; %bb.11:                               ;   in Loop: Header=BB30_10 Depth=3
	v_add_co_u32 v16, vcc_lo, s8, v16
	v_add_co_ci_u32_e32 v17, vcc_lo, s9, v17, vcc_lo
	v_lshlrev_b64 v[24:25], 3, v[14:15]
	global_load_b32 v16, v[16:17], off
	v_add_co_u32 v24, vcc_lo, s10, v24
	v_add_co_ci_u32_e32 v25, vcc_lo, s11, v25, vcc_lo
	s_waitcnt vmcnt(0)
	v_ashrrev_i32_e32 v17, 31, v16
	s_delay_alu instid0(VALU_DEP_1) | instskip(NEXT) | instid1(VALU_DEP_1)
	v_lshlrev_b64 v[15:16], 3, v[16:17]
	v_add_co_u32 v15, vcc_lo, s10, v15
	s_delay_alu instid0(VALU_DEP_2)
	v_add_co_ci_u32_e32 v16, vcc_lo, s11, v16, vcc_lo
	s_clause 0x1
	global_load_b64 v[24:25], v[24:25], off
	global_load_b64 v[15:16], v[15:16], off
	s_waitcnt vmcnt(0)
	v_fma_f64 v[10:11], v[24:25], v[15:16], v[10:11]
	s_branch .LBB30_9
.LBB30_12:                              ;   in Loop: Header=BB30_7 Depth=2
	s_or_b32 exec_lo, exec_lo, s33
.LBB30_13:                              ;   in Loop: Header=BB30_7 Depth=2
	s_delay_alu instid0(SALU_CYCLE_1) | instskip(SKIP_3) | instid1(VALU_DEP_1)
	s_or_b32 exec_lo, exec_lo, s31
	s_waitcnt vmcnt(1)
	v_add_f64 v[8:9], v[8:9], -v[10:11]
	s_waitcnt vmcnt(0)
	v_div_scale_f64 v[10:11], null, v[6:7], v[6:7], v[8:9]
	v_div_scale_f64 v[16:17], vcc_lo, v[8:9], v[6:7], v[8:9]
	s_delay_alu instid0(VALU_DEP_2) | instskip(SKIP_2) | instid1(VALU_DEP_1)
	v_rcp_f64_e32 v[12:13], v[10:11]
	s_waitcnt_depctr 0xfff
	v_fma_f64 v[14:15], -v[10:11], v[12:13], 1.0
	v_fma_f64 v[12:13], v[12:13], v[14:15], v[12:13]
	s_delay_alu instid0(VALU_DEP_1) | instskip(NEXT) | instid1(VALU_DEP_1)
	v_fma_f64 v[14:15], -v[10:11], v[12:13], 1.0
	v_fma_f64 v[12:13], v[12:13], v[14:15], v[12:13]
	s_delay_alu instid0(VALU_DEP_1) | instskip(NEXT) | instid1(VALU_DEP_1)
	v_mul_f64 v[14:15], v[16:17], v[12:13]
	v_fma_f64 v[10:11], -v[10:11], v[14:15], v[16:17]
	s_delay_alu instid0(VALU_DEP_1) | instskip(SKIP_1) | instid1(VALU_DEP_2)
	v_div_fmas_f64 v[10:11], v[10:11], v[12:13], v[14:15]
	v_cmp_gt_i32_e32 vcc_lo, v0, v3
	v_div_fixup_f64 v[6:7], v[10:11], v[6:7], v[8:9]
	s_delay_alu instid0(VALU_DEP_1) | instskip(NEXT) | instid1(VALU_DEP_1)
	v_dual_cndmask_b32 v3, v9, v7 :: v_dual_cndmask_b32 v2, v8, v6
	v_cmp_class_f64_e64 s31, v[2:3], 0x1f8
	s_delay_alu instid0(VALU_DEP_1)
	s_and_saveexec_b32 s1, s31
	s_cbranch_execz .LBB30_6
; %bb.14:                               ;   in Loop: Header=BB30_7 Depth=2
	v_add_co_u32 v4, vcc_lo, s10, v4
	v_add_co_ci_u32_e32 v5, vcc_lo, s11, v5, vcc_lo
	global_store_b64 v[4:5], v[2:3], off
	s_branch .LBB30_6
.LBB30_15:
	s_nop 0
	s_sendmsg sendmsg(MSG_DEALLOC_VGPRS)
	s_endpgm
	.section	.rodata,"a",@progbits
	.p2align	6, 0x0
	.amdhsa_kernel _ZN9rocsparseL16kernel_calculateILi1024ELi8ELb0EdiiEEvT4_T3_PKS2_S4_PKS1_PKT2_21rocsparse_index_base_S4_S4_S6_S4_S4_S6_S4_PS7_PNS_15floating_traitsIS7_E6data_tEPKSE_
		.amdhsa_group_segment_fixed_size 0
		.amdhsa_private_segment_fixed_size 0
		.amdhsa_kernarg_size 128
		.amdhsa_user_sgpr_count 15
		.amdhsa_user_sgpr_dispatch_ptr 0
		.amdhsa_user_sgpr_queue_ptr 0
		.amdhsa_user_sgpr_kernarg_segment_ptr 1
		.amdhsa_user_sgpr_dispatch_id 0
		.amdhsa_user_sgpr_private_segment_size 0
		.amdhsa_wavefront_size32 1
		.amdhsa_uses_dynamic_stack 0
		.amdhsa_enable_private_segment 0
		.amdhsa_system_sgpr_workgroup_id_x 1
		.amdhsa_system_sgpr_workgroup_id_y 0
		.amdhsa_system_sgpr_workgroup_id_z 0
		.amdhsa_system_sgpr_workgroup_info 0
		.amdhsa_system_vgpr_workitem_id 0
		.amdhsa_next_free_vgpr 27
		.amdhsa_next_free_sgpr 34
		.amdhsa_reserve_vcc 1
		.amdhsa_float_round_mode_32 0
		.amdhsa_float_round_mode_16_64 0
		.amdhsa_float_denorm_mode_32 3
		.amdhsa_float_denorm_mode_16_64 3
		.amdhsa_dx10_clamp 1
		.amdhsa_ieee_mode 1
		.amdhsa_fp16_overflow 0
		.amdhsa_workgroup_processor_mode 1
		.amdhsa_memory_ordered 1
		.amdhsa_forward_progress 0
		.amdhsa_shared_vgpr_count 0
		.amdhsa_exception_fp_ieee_invalid_op 0
		.amdhsa_exception_fp_denorm_src 0
		.amdhsa_exception_fp_ieee_div_zero 0
		.amdhsa_exception_fp_ieee_overflow 0
		.amdhsa_exception_fp_ieee_underflow 0
		.amdhsa_exception_fp_ieee_inexact 0
		.amdhsa_exception_int_div_zero 0
	.end_amdhsa_kernel
	.section	.text._ZN9rocsparseL16kernel_calculateILi1024ELi8ELb0EdiiEEvT4_T3_PKS2_S4_PKS1_PKT2_21rocsparse_index_base_S4_S4_S6_S4_S4_S6_S4_PS7_PNS_15floating_traitsIS7_E6data_tEPKSE_,"axG",@progbits,_ZN9rocsparseL16kernel_calculateILi1024ELi8ELb0EdiiEEvT4_T3_PKS2_S4_PKS1_PKT2_21rocsparse_index_base_S4_S4_S6_S4_S4_S6_S4_PS7_PNS_15floating_traitsIS7_E6data_tEPKSE_,comdat
.Lfunc_end30:
	.size	_ZN9rocsparseL16kernel_calculateILi1024ELi8ELb0EdiiEEvT4_T3_PKS2_S4_PKS1_PKT2_21rocsparse_index_base_S4_S4_S6_S4_S4_S6_S4_PS7_PNS_15floating_traitsIS7_E6data_tEPKSE_, .Lfunc_end30-_ZN9rocsparseL16kernel_calculateILi1024ELi8ELb0EdiiEEvT4_T3_PKS2_S4_PKS1_PKT2_21rocsparse_index_base_S4_S4_S6_S4_S4_S6_S4_PS7_PNS_15floating_traitsIS7_E6data_tEPKSE_
                                        ; -- End function
	.section	.AMDGPU.csdata,"",@progbits
; Kernel info:
; codeLenInByte = 1092
; NumSgprs: 36
; NumVgprs: 27
; ScratchSize: 0
; MemoryBound: 1
; FloatMode: 240
; IeeeMode: 1
; LDSByteSize: 0 bytes/workgroup (compile time only)
; SGPRBlocks: 4
; VGPRBlocks: 3
; NumSGPRsForWavesPerEU: 36
; NumVGPRsForWavesPerEU: 27
; Occupancy: 16
; WaveLimiterHint : 1
; COMPUTE_PGM_RSRC2:SCRATCH_EN: 0
; COMPUTE_PGM_RSRC2:USER_SGPR: 15
; COMPUTE_PGM_RSRC2:TRAP_HANDLER: 0
; COMPUTE_PGM_RSRC2:TGID_X_EN: 1
; COMPUTE_PGM_RSRC2:TGID_Y_EN: 0
; COMPUTE_PGM_RSRC2:TGID_Z_EN: 0
; COMPUTE_PGM_RSRC2:TIDIG_COMP_CNT: 0
	.section	.text._ZN9rocsparseL16kernel_calculateILi1024ELi16ELb0EdiiEEvT4_T3_PKS2_S4_PKS1_PKT2_21rocsparse_index_base_S4_S4_S6_S4_S4_S6_S4_PS7_PNS_15floating_traitsIS7_E6data_tEPKSE_,"axG",@progbits,_ZN9rocsparseL16kernel_calculateILi1024ELi16ELb0EdiiEEvT4_T3_PKS2_S4_PKS1_PKT2_21rocsparse_index_base_S4_S4_S6_S4_S4_S6_S4_PS7_PNS_15floating_traitsIS7_E6data_tEPKSE_,comdat
	.globl	_ZN9rocsparseL16kernel_calculateILi1024ELi16ELb0EdiiEEvT4_T3_PKS2_S4_PKS1_PKT2_21rocsparse_index_base_S4_S4_S6_S4_S4_S6_S4_PS7_PNS_15floating_traitsIS7_E6data_tEPKSE_ ; -- Begin function _ZN9rocsparseL16kernel_calculateILi1024ELi16ELb0EdiiEEvT4_T3_PKS2_S4_PKS1_PKT2_21rocsparse_index_base_S4_S4_S6_S4_S4_S6_S4_PS7_PNS_15floating_traitsIS7_E6data_tEPKSE_
	.p2align	8
	.type	_ZN9rocsparseL16kernel_calculateILi1024ELi16ELb0EdiiEEvT4_T3_PKS2_S4_PKS1_PKT2_21rocsparse_index_base_S4_S4_S6_S4_S4_S6_S4_PS7_PNS_15floating_traitsIS7_E6data_tEPKSE_,@function
_ZN9rocsparseL16kernel_calculateILi1024ELi16ELb0EdiiEEvT4_T3_PKS2_S4_PKS1_PKT2_21rocsparse_index_base_S4_S4_S6_S4_S4_S6_S4_PS7_PNS_15floating_traitsIS7_E6data_tEPKSE_: ; @_ZN9rocsparseL16kernel_calculateILi1024ELi16ELb0EdiiEEvT4_T3_PKS2_S4_PKS1_PKT2_21rocsparse_index_base_S4_S4_S6_S4_S4_S6_S4_PS7_PNS_15floating_traitsIS7_E6data_tEPKSE_
; %bb.0:
	s_load_b32 s2, s[0:1], 0x0
	v_lshrrev_b32_e32 v1, 4, v0
	s_mov_b32 s3, exec_lo
	s_delay_alu instid0(VALU_DEP_1) | instskip(SKIP_1) | instid1(VALU_DEP_1)
	v_lshl_or_b32 v18, s15, 10, v1
	s_waitcnt lgkmcnt(0)
	v_cmpx_gt_i32_e64 s2, v18
	s_cbranch_execz .LBB31_15
; %bb.1:
	s_clause 0x3
	s_load_b32 s3, s[0:1], 0x28
	s_load_b256 s[4:11], s[0:1], 0x50
	s_load_b256 s[12:19], s[0:1], 0x30
	s_load_b256 s[20:27], s[0:1], 0x8
	v_and_b32_e32 v0, 15, v0
	s_mov_b32 s28, 0
	s_waitcnt lgkmcnt(0)
	s_delay_alu instid0(VALU_DEP_1)
	v_subrev_nc_u32_e32 v19, s3, v0
	s_branch .LBB31_3
.LBB31_2:                               ;   in Loop: Header=BB31_3 Depth=1
	s_or_b32 exec_lo, exec_lo, s29
	s_add_i32 s28, s28, 1
	s_delay_alu instid0(SALU_CYCLE_1)
	s_cmp_lg_u32 s28, 16
	s_cbranch_scc0 .LBB31_15
.LBB31_3:                               ; =>This Loop Header: Depth=1
                                        ;     Child Loop BB31_7 Depth 2
                                        ;       Child Loop BB31_10 Depth 3
	v_lshl_add_u32 v0, s28, 6, v18
	s_mov_b32 s29, exec_lo
	s_delay_alu instid0(VALU_DEP_1)
	v_cmpx_gt_i32_e64 s2, v0
	s_cbranch_execz .LBB31_2
; %bb.4:                                ;   in Loop: Header=BB31_3 Depth=1
	v_ashrrev_i32_e32 v1, 31, v0
	s_delay_alu instid0(VALU_DEP_1) | instskip(NEXT) | instid1(VALU_DEP_1)
	v_lshlrev_b64 v[2:3], 2, v[0:1]
	v_add_co_u32 v4, vcc_lo, s22, v2
	s_delay_alu instid0(VALU_DEP_2)
	v_add_co_ci_u32_e32 v5, vcc_lo, s23, v3, vcc_lo
	v_add_co_u32 v6, vcc_lo, s20, v2
	v_add_co_ci_u32_e32 v7, vcc_lo, s21, v3, vcc_lo
	global_load_b32 v1, v[4:5], off
	global_load_b32 v4, v[6:7], off
	s_waitcnt vmcnt(1)
	v_subrev_nc_u32_e32 v20, s3, v1
	s_waitcnt vmcnt(0)
	v_add_nc_u32_e32 v1, v19, v4
	s_delay_alu instid0(VALU_DEP_1)
	v_cmp_lt_i32_e32 vcc_lo, v1, v20
	s_and_b32 exec_lo, exec_lo, vcc_lo
	s_cbranch_execz .LBB31_2
; %bb.5:                                ;   in Loop: Header=BB31_3 Depth=1
	v_add_co_u32 v4, vcc_lo, s14, v2
	v_add_co_ci_u32_e32 v5, vcc_lo, s15, v3, vcc_lo
	v_add_co_u32 v2, vcc_lo, s12, v2
	v_add_co_ci_u32_e32 v3, vcc_lo, s13, v3, vcc_lo
	s_mov_b32 s30, 0
	global_load_b32 v4, v[4:5], off
	global_load_b32 v2, v[2:3], off
	s_waitcnt vmcnt(1)
	v_subrev_nc_u32_e32 v21, s3, v4
	s_waitcnt vmcnt(0)
	v_cmp_lt_i32_e64 s0, v2, v4
	v_subrev_nc_u32_e32 v22, s3, v2
	s_branch .LBB31_7
.LBB31_6:                               ;   in Loop: Header=BB31_7 Depth=2
	s_or_b32 exec_lo, exec_lo, s1
	v_add_nc_u32_e32 v1, 16, v1
	s_delay_alu instid0(VALU_DEP_1) | instskip(SKIP_1) | instid1(SALU_CYCLE_1)
	v_cmp_ge_i32_e32 vcc_lo, v1, v20
	s_or_b32 s30, vcc_lo, s30
	s_and_not1_b32 exec_lo, exec_lo, s30
	s_cbranch_execz .LBB31_2
.LBB31_7:                               ;   Parent Loop BB31_3 Depth=1
                                        ; =>  This Loop Header: Depth=2
                                        ;       Child Loop BB31_10 Depth 3
	v_ashrrev_i32_e32 v2, 31, v1
	s_delay_alu instid0(VALU_DEP_1) | instskip(NEXT) | instid1(VALU_DEP_1)
	v_lshlrev_b64 v[3:4], 2, v[1:2]
	v_add_co_u32 v3, vcc_lo, s24, v3
	s_delay_alu instid0(VALU_DEP_2) | instskip(SKIP_3) | instid1(VALU_DEP_1)
	v_add_co_ci_u32_e32 v4, vcc_lo, s25, v4, vcc_lo
	global_load_b32 v3, v[3:4], off
	s_waitcnt vmcnt(0)
	v_subrev_nc_u32_e32 v3, s3, v3
	v_ashrrev_i32_e32 v4, 31, v3
	s_delay_alu instid0(VALU_DEP_1) | instskip(NEXT) | instid1(VALU_DEP_1)
	v_lshlrev_b64 v[6:7], 2, v[3:4]
	v_add_co_u32 v4, vcc_lo, s14, v6
	s_delay_alu instid0(VALU_DEP_2)
	v_add_co_ci_u32_e32 v5, vcc_lo, s15, v7, vcc_lo
	v_add_co_u32 v10, vcc_lo, s4, v6
	v_add_co_ci_u32_e32 v11, vcc_lo, s5, v7, vcc_lo
	global_load_b32 v8, v[4:5], off
	v_lshlrev_b64 v[4:5], 3, v[1:2]
	v_add_co_u32 v6, vcc_lo, s18, v6
	v_add_co_ci_u32_e32 v7, vcc_lo, s19, v7, vcc_lo
	global_load_b32 v2, v[10:11], off
	global_load_b32 v12, v[6:7], off
	v_add_co_u32 v13, vcc_lo, s26, v4
	v_add_co_ci_u32_e32 v14, vcc_lo, s27, v5, vcc_lo
	v_mov_b32_e32 v10, 0
	v_mov_b32_e32 v11, 0
	s_waitcnt vmcnt(2)
	v_subrev_nc_u32_e32 v8, s3, v8
	s_delay_alu instid0(VALU_DEP_1) | instskip(NEXT) | instid1(VALU_DEP_1)
	v_ashrrev_i32_e32 v9, 31, v8
	v_lshlrev_b64 v[8:9], 3, v[8:9]
	s_delay_alu instid0(VALU_DEP_1) | instskip(NEXT) | instid1(VALU_DEP_2)
	v_add_co_u32 v6, vcc_lo, s10, v8
	v_add_co_ci_u32_e32 v7, vcc_lo, s11, v9, vcc_lo
	s_waitcnt vmcnt(0)
	v_cmp_lt_i32_e32 vcc_lo, v12, v2
	global_load_b64 v[8:9], v[13:14], off
	global_load_b64 v[6:7], v[6:7], off
	s_and_b32 s1, s0, vcc_lo
	s_delay_alu instid0(SALU_CYCLE_1)
	s_and_saveexec_b32 s31, s1
	s_cbranch_execz .LBB31_13
; %bb.8:                                ;   in Loop: Header=BB31_7 Depth=2
	v_mov_b32_e32 v10, 0
	v_subrev_nc_u32_e32 v2, s3, v2
	v_subrev_nc_u32_e32 v12, s3, v12
	v_dual_mov_b32 v11, 0 :: v_dual_mov_b32 v14, v22
	s_mov_b32 s33, 0
	s_branch .LBB31_10
.LBB31_9:                               ;   in Loop: Header=BB31_10 Depth=3
	s_or_b32 exec_lo, exec_lo, s1
	v_cmp_le_i32_e32 vcc_lo, v13, v23
	v_add_co_ci_u32_e32 v14, vcc_lo, 0, v14, vcc_lo
	v_cmp_ge_i32_e32 vcc_lo, v13, v23
	v_add_co_ci_u32_e32 v12, vcc_lo, 0, v12, vcc_lo
	s_delay_alu instid0(VALU_DEP_3) | instskip(NEXT) | instid1(VALU_DEP_2)
	v_cmp_ge_i32_e32 vcc_lo, v14, v21
	v_cmp_ge_i32_e64 s1, v12, v2
	s_delay_alu instid0(VALU_DEP_1) | instskip(NEXT) | instid1(SALU_CYCLE_1)
	s_or_b32 s1, vcc_lo, s1
	s_and_b32 s1, exec_lo, s1
	s_delay_alu instid0(SALU_CYCLE_1) | instskip(NEXT) | instid1(SALU_CYCLE_1)
	s_or_b32 s33, s1, s33
	s_and_not1_b32 exec_lo, exec_lo, s33
	s_cbranch_execz .LBB31_12
.LBB31_10:                              ;   Parent Loop BB31_3 Depth=1
                                        ;     Parent Loop BB31_7 Depth=2
                                        ; =>    This Inner Loop Header: Depth=3
	s_delay_alu instid0(VALU_DEP_1) | instskip(SKIP_2) | instid1(VALU_DEP_2)
	v_ashrrev_i32_e32 v15, 31, v14
	v_ashrrev_i32_e32 v13, 31, v12
	s_mov_b32 s1, exec_lo
	v_lshlrev_b64 v[23:24], 2, v[14:15]
	s_delay_alu instid0(VALU_DEP_2) | instskip(NEXT) | instid1(VALU_DEP_2)
	v_lshlrev_b64 v[16:17], 2, v[12:13]
	v_add_co_u32 v23, vcc_lo, s16, v23
	s_delay_alu instid0(VALU_DEP_3) | instskip(NEXT) | instid1(VALU_DEP_3)
	v_add_co_ci_u32_e32 v24, vcc_lo, s17, v24, vcc_lo
	v_add_co_u32 v25, vcc_lo, s6, v16
	s_delay_alu instid0(VALU_DEP_4)
	v_add_co_ci_u32_e32 v26, vcc_lo, s7, v17, vcc_lo
	global_load_b32 v13, v[23:24], off
	global_load_b32 v23, v[25:26], off
	s_waitcnt vmcnt(0)
	v_cmpx_eq_u32_e64 v13, v23
	s_cbranch_execz .LBB31_9
; %bb.11:                               ;   in Loop: Header=BB31_10 Depth=3
	v_add_co_u32 v16, vcc_lo, s8, v16
	v_add_co_ci_u32_e32 v17, vcc_lo, s9, v17, vcc_lo
	v_lshlrev_b64 v[24:25], 3, v[14:15]
	global_load_b32 v16, v[16:17], off
	v_add_co_u32 v24, vcc_lo, s10, v24
	v_add_co_ci_u32_e32 v25, vcc_lo, s11, v25, vcc_lo
	s_waitcnt vmcnt(0)
	v_ashrrev_i32_e32 v17, 31, v16
	s_delay_alu instid0(VALU_DEP_1) | instskip(NEXT) | instid1(VALU_DEP_1)
	v_lshlrev_b64 v[15:16], 3, v[16:17]
	v_add_co_u32 v15, vcc_lo, s10, v15
	s_delay_alu instid0(VALU_DEP_2)
	v_add_co_ci_u32_e32 v16, vcc_lo, s11, v16, vcc_lo
	s_clause 0x1
	global_load_b64 v[24:25], v[24:25], off
	global_load_b64 v[15:16], v[15:16], off
	s_waitcnt vmcnt(0)
	v_fma_f64 v[10:11], v[24:25], v[15:16], v[10:11]
	s_branch .LBB31_9
.LBB31_12:                              ;   in Loop: Header=BB31_7 Depth=2
	s_or_b32 exec_lo, exec_lo, s33
.LBB31_13:                              ;   in Loop: Header=BB31_7 Depth=2
	s_delay_alu instid0(SALU_CYCLE_1) | instskip(SKIP_3) | instid1(VALU_DEP_1)
	s_or_b32 exec_lo, exec_lo, s31
	s_waitcnt vmcnt(1)
	v_add_f64 v[8:9], v[8:9], -v[10:11]
	s_waitcnt vmcnt(0)
	v_div_scale_f64 v[10:11], null, v[6:7], v[6:7], v[8:9]
	v_div_scale_f64 v[16:17], vcc_lo, v[8:9], v[6:7], v[8:9]
	s_delay_alu instid0(VALU_DEP_2) | instskip(SKIP_2) | instid1(VALU_DEP_1)
	v_rcp_f64_e32 v[12:13], v[10:11]
	s_waitcnt_depctr 0xfff
	v_fma_f64 v[14:15], -v[10:11], v[12:13], 1.0
	v_fma_f64 v[12:13], v[12:13], v[14:15], v[12:13]
	s_delay_alu instid0(VALU_DEP_1) | instskip(NEXT) | instid1(VALU_DEP_1)
	v_fma_f64 v[14:15], -v[10:11], v[12:13], 1.0
	v_fma_f64 v[12:13], v[12:13], v[14:15], v[12:13]
	s_delay_alu instid0(VALU_DEP_1) | instskip(NEXT) | instid1(VALU_DEP_1)
	v_mul_f64 v[14:15], v[16:17], v[12:13]
	v_fma_f64 v[10:11], -v[10:11], v[14:15], v[16:17]
	s_delay_alu instid0(VALU_DEP_1) | instskip(SKIP_1) | instid1(VALU_DEP_2)
	v_div_fmas_f64 v[10:11], v[10:11], v[12:13], v[14:15]
	v_cmp_gt_i32_e32 vcc_lo, v0, v3
	v_div_fixup_f64 v[6:7], v[10:11], v[6:7], v[8:9]
	s_delay_alu instid0(VALU_DEP_1) | instskip(NEXT) | instid1(VALU_DEP_1)
	v_dual_cndmask_b32 v3, v9, v7 :: v_dual_cndmask_b32 v2, v8, v6
	v_cmp_class_f64_e64 s31, v[2:3], 0x1f8
	s_delay_alu instid0(VALU_DEP_1)
	s_and_saveexec_b32 s1, s31
	s_cbranch_execz .LBB31_6
; %bb.14:                               ;   in Loop: Header=BB31_7 Depth=2
	v_add_co_u32 v4, vcc_lo, s10, v4
	v_add_co_ci_u32_e32 v5, vcc_lo, s11, v5, vcc_lo
	global_store_b64 v[4:5], v[2:3], off
	s_branch .LBB31_6
.LBB31_15:
	s_nop 0
	s_sendmsg sendmsg(MSG_DEALLOC_VGPRS)
	s_endpgm
	.section	.rodata,"a",@progbits
	.p2align	6, 0x0
	.amdhsa_kernel _ZN9rocsparseL16kernel_calculateILi1024ELi16ELb0EdiiEEvT4_T3_PKS2_S4_PKS1_PKT2_21rocsparse_index_base_S4_S4_S6_S4_S4_S6_S4_PS7_PNS_15floating_traitsIS7_E6data_tEPKSE_
		.amdhsa_group_segment_fixed_size 0
		.amdhsa_private_segment_fixed_size 0
		.amdhsa_kernarg_size 128
		.amdhsa_user_sgpr_count 15
		.amdhsa_user_sgpr_dispatch_ptr 0
		.amdhsa_user_sgpr_queue_ptr 0
		.amdhsa_user_sgpr_kernarg_segment_ptr 1
		.amdhsa_user_sgpr_dispatch_id 0
		.amdhsa_user_sgpr_private_segment_size 0
		.amdhsa_wavefront_size32 1
		.amdhsa_uses_dynamic_stack 0
		.amdhsa_enable_private_segment 0
		.amdhsa_system_sgpr_workgroup_id_x 1
		.amdhsa_system_sgpr_workgroup_id_y 0
		.amdhsa_system_sgpr_workgroup_id_z 0
		.amdhsa_system_sgpr_workgroup_info 0
		.amdhsa_system_vgpr_workitem_id 0
		.amdhsa_next_free_vgpr 27
		.amdhsa_next_free_sgpr 34
		.amdhsa_reserve_vcc 1
		.amdhsa_float_round_mode_32 0
		.amdhsa_float_round_mode_16_64 0
		.amdhsa_float_denorm_mode_32 3
		.amdhsa_float_denorm_mode_16_64 3
		.amdhsa_dx10_clamp 1
		.amdhsa_ieee_mode 1
		.amdhsa_fp16_overflow 0
		.amdhsa_workgroup_processor_mode 1
		.amdhsa_memory_ordered 1
		.amdhsa_forward_progress 0
		.amdhsa_shared_vgpr_count 0
		.amdhsa_exception_fp_ieee_invalid_op 0
		.amdhsa_exception_fp_denorm_src 0
		.amdhsa_exception_fp_ieee_div_zero 0
		.amdhsa_exception_fp_ieee_overflow 0
		.amdhsa_exception_fp_ieee_underflow 0
		.amdhsa_exception_fp_ieee_inexact 0
		.amdhsa_exception_int_div_zero 0
	.end_amdhsa_kernel
	.section	.text._ZN9rocsparseL16kernel_calculateILi1024ELi16ELb0EdiiEEvT4_T3_PKS2_S4_PKS1_PKT2_21rocsparse_index_base_S4_S4_S6_S4_S4_S6_S4_PS7_PNS_15floating_traitsIS7_E6data_tEPKSE_,"axG",@progbits,_ZN9rocsparseL16kernel_calculateILi1024ELi16ELb0EdiiEEvT4_T3_PKS2_S4_PKS1_PKT2_21rocsparse_index_base_S4_S4_S6_S4_S4_S6_S4_PS7_PNS_15floating_traitsIS7_E6data_tEPKSE_,comdat
.Lfunc_end31:
	.size	_ZN9rocsparseL16kernel_calculateILi1024ELi16ELb0EdiiEEvT4_T3_PKS2_S4_PKS1_PKT2_21rocsparse_index_base_S4_S4_S6_S4_S4_S6_S4_PS7_PNS_15floating_traitsIS7_E6data_tEPKSE_, .Lfunc_end31-_ZN9rocsparseL16kernel_calculateILi1024ELi16ELb0EdiiEEvT4_T3_PKS2_S4_PKS1_PKT2_21rocsparse_index_base_S4_S4_S6_S4_S4_S6_S4_PS7_PNS_15floating_traitsIS7_E6data_tEPKSE_
                                        ; -- End function
	.section	.AMDGPU.csdata,"",@progbits
; Kernel info:
; codeLenInByte = 1092
; NumSgprs: 36
; NumVgprs: 27
; ScratchSize: 0
; MemoryBound: 1
; FloatMode: 240
; IeeeMode: 1
; LDSByteSize: 0 bytes/workgroup (compile time only)
; SGPRBlocks: 4
; VGPRBlocks: 3
; NumSGPRsForWavesPerEU: 36
; NumVGPRsForWavesPerEU: 27
; Occupancy: 16
; WaveLimiterHint : 1
; COMPUTE_PGM_RSRC2:SCRATCH_EN: 0
; COMPUTE_PGM_RSRC2:USER_SGPR: 15
; COMPUTE_PGM_RSRC2:TRAP_HANDLER: 0
; COMPUTE_PGM_RSRC2:TGID_X_EN: 1
; COMPUTE_PGM_RSRC2:TGID_Y_EN: 0
; COMPUTE_PGM_RSRC2:TGID_Z_EN: 0
; COMPUTE_PGM_RSRC2:TIDIG_COMP_CNT: 0
	.section	.text._ZN9rocsparseL16kernel_calculateILi1024ELi32ELb0EdiiEEvT4_T3_PKS2_S4_PKS1_PKT2_21rocsparse_index_base_S4_S4_S6_S4_S4_S6_S4_PS7_PNS_15floating_traitsIS7_E6data_tEPKSE_,"axG",@progbits,_ZN9rocsparseL16kernel_calculateILi1024ELi32ELb0EdiiEEvT4_T3_PKS2_S4_PKS1_PKT2_21rocsparse_index_base_S4_S4_S6_S4_S4_S6_S4_PS7_PNS_15floating_traitsIS7_E6data_tEPKSE_,comdat
	.globl	_ZN9rocsparseL16kernel_calculateILi1024ELi32ELb0EdiiEEvT4_T3_PKS2_S4_PKS1_PKT2_21rocsparse_index_base_S4_S4_S6_S4_S4_S6_S4_PS7_PNS_15floating_traitsIS7_E6data_tEPKSE_ ; -- Begin function _ZN9rocsparseL16kernel_calculateILi1024ELi32ELb0EdiiEEvT4_T3_PKS2_S4_PKS1_PKT2_21rocsparse_index_base_S4_S4_S6_S4_S4_S6_S4_PS7_PNS_15floating_traitsIS7_E6data_tEPKSE_
	.p2align	8
	.type	_ZN9rocsparseL16kernel_calculateILi1024ELi32ELb0EdiiEEvT4_T3_PKS2_S4_PKS1_PKT2_21rocsparse_index_base_S4_S4_S6_S4_S4_S6_S4_PS7_PNS_15floating_traitsIS7_E6data_tEPKSE_,@function
_ZN9rocsparseL16kernel_calculateILi1024ELi32ELb0EdiiEEvT4_T3_PKS2_S4_PKS1_PKT2_21rocsparse_index_base_S4_S4_S6_S4_S4_S6_S4_PS7_PNS_15floating_traitsIS7_E6data_tEPKSE_: ; @_ZN9rocsparseL16kernel_calculateILi1024ELi32ELb0EdiiEEvT4_T3_PKS2_S4_PKS1_PKT2_21rocsparse_index_base_S4_S4_S6_S4_S4_S6_S4_PS7_PNS_15floating_traitsIS7_E6data_tEPKSE_
; %bb.0:
	s_load_b32 s2, s[0:1], 0x0
	v_lshrrev_b32_e32 v1, 5, v0
	s_mov_b32 s3, exec_lo
	s_delay_alu instid0(VALU_DEP_1) | instskip(SKIP_1) | instid1(VALU_DEP_1)
	v_lshl_or_b32 v18, s15, 10, v1
	s_waitcnt lgkmcnt(0)
	v_cmpx_gt_i32_e64 s2, v18
	s_cbranch_execz .LBB32_15
; %bb.1:
	s_clause 0x3
	s_load_b32 s3, s[0:1], 0x28
	s_load_b256 s[4:11], s[0:1], 0x50
	s_load_b256 s[12:19], s[0:1], 0x30
	s_load_b256 s[20:27], s[0:1], 0x8
	v_and_b32_e32 v0, 31, v0
	s_mov_b32 s28, 0
	s_waitcnt lgkmcnt(0)
	s_delay_alu instid0(VALU_DEP_1)
	v_subrev_nc_u32_e32 v19, s3, v0
	s_branch .LBB32_3
.LBB32_2:                               ;   in Loop: Header=BB32_3 Depth=1
	s_or_b32 exec_lo, exec_lo, s29
	s_add_i32 s28, s28, 1
	s_delay_alu instid0(SALU_CYCLE_1)
	s_cmp_lg_u32 s28, 32
	s_cbranch_scc0 .LBB32_15
.LBB32_3:                               ; =>This Loop Header: Depth=1
                                        ;     Child Loop BB32_7 Depth 2
                                        ;       Child Loop BB32_10 Depth 3
	v_lshl_add_u32 v0, s28, 5, v18
	s_mov_b32 s29, exec_lo
	s_delay_alu instid0(VALU_DEP_1)
	v_cmpx_gt_i32_e64 s2, v0
	s_cbranch_execz .LBB32_2
; %bb.4:                                ;   in Loop: Header=BB32_3 Depth=1
	v_ashrrev_i32_e32 v1, 31, v0
	s_delay_alu instid0(VALU_DEP_1) | instskip(NEXT) | instid1(VALU_DEP_1)
	v_lshlrev_b64 v[2:3], 2, v[0:1]
	v_add_co_u32 v4, vcc_lo, s22, v2
	s_delay_alu instid0(VALU_DEP_2)
	v_add_co_ci_u32_e32 v5, vcc_lo, s23, v3, vcc_lo
	v_add_co_u32 v6, vcc_lo, s20, v2
	v_add_co_ci_u32_e32 v7, vcc_lo, s21, v3, vcc_lo
	global_load_b32 v1, v[4:5], off
	global_load_b32 v4, v[6:7], off
	s_waitcnt vmcnt(1)
	v_subrev_nc_u32_e32 v20, s3, v1
	s_waitcnt vmcnt(0)
	v_add_nc_u32_e32 v1, v19, v4
	s_delay_alu instid0(VALU_DEP_1)
	v_cmp_lt_i32_e32 vcc_lo, v1, v20
	s_and_b32 exec_lo, exec_lo, vcc_lo
	s_cbranch_execz .LBB32_2
; %bb.5:                                ;   in Loop: Header=BB32_3 Depth=1
	v_add_co_u32 v4, vcc_lo, s14, v2
	v_add_co_ci_u32_e32 v5, vcc_lo, s15, v3, vcc_lo
	v_add_co_u32 v2, vcc_lo, s12, v2
	v_add_co_ci_u32_e32 v3, vcc_lo, s13, v3, vcc_lo
	s_mov_b32 s30, 0
	global_load_b32 v4, v[4:5], off
	global_load_b32 v2, v[2:3], off
	s_waitcnt vmcnt(1)
	v_subrev_nc_u32_e32 v21, s3, v4
	s_waitcnt vmcnt(0)
	v_cmp_lt_i32_e64 s0, v2, v4
	v_subrev_nc_u32_e32 v22, s3, v2
	s_branch .LBB32_7
.LBB32_6:                               ;   in Loop: Header=BB32_7 Depth=2
	s_or_b32 exec_lo, exec_lo, s1
	v_add_nc_u32_e32 v1, 32, v1
	s_delay_alu instid0(VALU_DEP_1) | instskip(SKIP_1) | instid1(SALU_CYCLE_1)
	v_cmp_ge_i32_e32 vcc_lo, v1, v20
	s_or_b32 s30, vcc_lo, s30
	s_and_not1_b32 exec_lo, exec_lo, s30
	s_cbranch_execz .LBB32_2
.LBB32_7:                               ;   Parent Loop BB32_3 Depth=1
                                        ; =>  This Loop Header: Depth=2
                                        ;       Child Loop BB32_10 Depth 3
	v_ashrrev_i32_e32 v2, 31, v1
	s_delay_alu instid0(VALU_DEP_1) | instskip(NEXT) | instid1(VALU_DEP_1)
	v_lshlrev_b64 v[3:4], 2, v[1:2]
	v_add_co_u32 v3, vcc_lo, s24, v3
	s_delay_alu instid0(VALU_DEP_2) | instskip(SKIP_3) | instid1(VALU_DEP_1)
	v_add_co_ci_u32_e32 v4, vcc_lo, s25, v4, vcc_lo
	global_load_b32 v3, v[3:4], off
	s_waitcnt vmcnt(0)
	v_subrev_nc_u32_e32 v3, s3, v3
	v_ashrrev_i32_e32 v4, 31, v3
	s_delay_alu instid0(VALU_DEP_1) | instskip(NEXT) | instid1(VALU_DEP_1)
	v_lshlrev_b64 v[6:7], 2, v[3:4]
	v_add_co_u32 v4, vcc_lo, s14, v6
	s_delay_alu instid0(VALU_DEP_2)
	v_add_co_ci_u32_e32 v5, vcc_lo, s15, v7, vcc_lo
	v_add_co_u32 v10, vcc_lo, s4, v6
	v_add_co_ci_u32_e32 v11, vcc_lo, s5, v7, vcc_lo
	global_load_b32 v8, v[4:5], off
	v_lshlrev_b64 v[4:5], 3, v[1:2]
	v_add_co_u32 v6, vcc_lo, s18, v6
	v_add_co_ci_u32_e32 v7, vcc_lo, s19, v7, vcc_lo
	global_load_b32 v2, v[10:11], off
	global_load_b32 v12, v[6:7], off
	v_add_co_u32 v13, vcc_lo, s26, v4
	v_add_co_ci_u32_e32 v14, vcc_lo, s27, v5, vcc_lo
	v_mov_b32_e32 v10, 0
	v_mov_b32_e32 v11, 0
	s_waitcnt vmcnt(2)
	v_subrev_nc_u32_e32 v8, s3, v8
	s_delay_alu instid0(VALU_DEP_1) | instskip(NEXT) | instid1(VALU_DEP_1)
	v_ashrrev_i32_e32 v9, 31, v8
	v_lshlrev_b64 v[8:9], 3, v[8:9]
	s_delay_alu instid0(VALU_DEP_1) | instskip(NEXT) | instid1(VALU_DEP_2)
	v_add_co_u32 v6, vcc_lo, s10, v8
	v_add_co_ci_u32_e32 v7, vcc_lo, s11, v9, vcc_lo
	s_waitcnt vmcnt(0)
	v_cmp_lt_i32_e32 vcc_lo, v12, v2
	global_load_b64 v[8:9], v[13:14], off
	global_load_b64 v[6:7], v[6:7], off
	s_and_b32 s1, s0, vcc_lo
	s_delay_alu instid0(SALU_CYCLE_1)
	s_and_saveexec_b32 s31, s1
	s_cbranch_execz .LBB32_13
; %bb.8:                                ;   in Loop: Header=BB32_7 Depth=2
	v_mov_b32_e32 v10, 0
	v_subrev_nc_u32_e32 v2, s3, v2
	v_subrev_nc_u32_e32 v12, s3, v12
	v_dual_mov_b32 v11, 0 :: v_dual_mov_b32 v14, v22
	s_mov_b32 s33, 0
	s_branch .LBB32_10
.LBB32_9:                               ;   in Loop: Header=BB32_10 Depth=3
	s_or_b32 exec_lo, exec_lo, s1
	v_cmp_le_i32_e32 vcc_lo, v13, v23
	v_add_co_ci_u32_e32 v14, vcc_lo, 0, v14, vcc_lo
	v_cmp_ge_i32_e32 vcc_lo, v13, v23
	v_add_co_ci_u32_e32 v12, vcc_lo, 0, v12, vcc_lo
	s_delay_alu instid0(VALU_DEP_3) | instskip(NEXT) | instid1(VALU_DEP_2)
	v_cmp_ge_i32_e32 vcc_lo, v14, v21
	v_cmp_ge_i32_e64 s1, v12, v2
	s_delay_alu instid0(VALU_DEP_1) | instskip(NEXT) | instid1(SALU_CYCLE_1)
	s_or_b32 s1, vcc_lo, s1
	s_and_b32 s1, exec_lo, s1
	s_delay_alu instid0(SALU_CYCLE_1) | instskip(NEXT) | instid1(SALU_CYCLE_1)
	s_or_b32 s33, s1, s33
	s_and_not1_b32 exec_lo, exec_lo, s33
	s_cbranch_execz .LBB32_12
.LBB32_10:                              ;   Parent Loop BB32_3 Depth=1
                                        ;     Parent Loop BB32_7 Depth=2
                                        ; =>    This Inner Loop Header: Depth=3
	s_delay_alu instid0(VALU_DEP_1) | instskip(SKIP_2) | instid1(VALU_DEP_2)
	v_ashrrev_i32_e32 v15, 31, v14
	v_ashrrev_i32_e32 v13, 31, v12
	s_mov_b32 s1, exec_lo
	v_lshlrev_b64 v[23:24], 2, v[14:15]
	s_delay_alu instid0(VALU_DEP_2) | instskip(NEXT) | instid1(VALU_DEP_2)
	v_lshlrev_b64 v[16:17], 2, v[12:13]
	v_add_co_u32 v23, vcc_lo, s16, v23
	s_delay_alu instid0(VALU_DEP_3) | instskip(NEXT) | instid1(VALU_DEP_3)
	v_add_co_ci_u32_e32 v24, vcc_lo, s17, v24, vcc_lo
	v_add_co_u32 v25, vcc_lo, s6, v16
	s_delay_alu instid0(VALU_DEP_4)
	v_add_co_ci_u32_e32 v26, vcc_lo, s7, v17, vcc_lo
	global_load_b32 v13, v[23:24], off
	global_load_b32 v23, v[25:26], off
	s_waitcnt vmcnt(0)
	v_cmpx_eq_u32_e64 v13, v23
	s_cbranch_execz .LBB32_9
; %bb.11:                               ;   in Loop: Header=BB32_10 Depth=3
	v_add_co_u32 v16, vcc_lo, s8, v16
	v_add_co_ci_u32_e32 v17, vcc_lo, s9, v17, vcc_lo
	v_lshlrev_b64 v[24:25], 3, v[14:15]
	global_load_b32 v16, v[16:17], off
	v_add_co_u32 v24, vcc_lo, s10, v24
	v_add_co_ci_u32_e32 v25, vcc_lo, s11, v25, vcc_lo
	s_waitcnt vmcnt(0)
	v_ashrrev_i32_e32 v17, 31, v16
	s_delay_alu instid0(VALU_DEP_1) | instskip(NEXT) | instid1(VALU_DEP_1)
	v_lshlrev_b64 v[15:16], 3, v[16:17]
	v_add_co_u32 v15, vcc_lo, s10, v15
	s_delay_alu instid0(VALU_DEP_2)
	v_add_co_ci_u32_e32 v16, vcc_lo, s11, v16, vcc_lo
	s_clause 0x1
	global_load_b64 v[24:25], v[24:25], off
	global_load_b64 v[15:16], v[15:16], off
	s_waitcnt vmcnt(0)
	v_fma_f64 v[10:11], v[24:25], v[15:16], v[10:11]
	s_branch .LBB32_9
.LBB32_12:                              ;   in Loop: Header=BB32_7 Depth=2
	s_or_b32 exec_lo, exec_lo, s33
.LBB32_13:                              ;   in Loop: Header=BB32_7 Depth=2
	s_delay_alu instid0(SALU_CYCLE_1) | instskip(SKIP_3) | instid1(VALU_DEP_1)
	s_or_b32 exec_lo, exec_lo, s31
	s_waitcnt vmcnt(1)
	v_add_f64 v[8:9], v[8:9], -v[10:11]
	s_waitcnt vmcnt(0)
	v_div_scale_f64 v[10:11], null, v[6:7], v[6:7], v[8:9]
	v_div_scale_f64 v[16:17], vcc_lo, v[8:9], v[6:7], v[8:9]
	s_delay_alu instid0(VALU_DEP_2) | instskip(SKIP_2) | instid1(VALU_DEP_1)
	v_rcp_f64_e32 v[12:13], v[10:11]
	s_waitcnt_depctr 0xfff
	v_fma_f64 v[14:15], -v[10:11], v[12:13], 1.0
	v_fma_f64 v[12:13], v[12:13], v[14:15], v[12:13]
	s_delay_alu instid0(VALU_DEP_1) | instskip(NEXT) | instid1(VALU_DEP_1)
	v_fma_f64 v[14:15], -v[10:11], v[12:13], 1.0
	v_fma_f64 v[12:13], v[12:13], v[14:15], v[12:13]
	s_delay_alu instid0(VALU_DEP_1) | instskip(NEXT) | instid1(VALU_DEP_1)
	v_mul_f64 v[14:15], v[16:17], v[12:13]
	v_fma_f64 v[10:11], -v[10:11], v[14:15], v[16:17]
	s_delay_alu instid0(VALU_DEP_1) | instskip(SKIP_1) | instid1(VALU_DEP_2)
	v_div_fmas_f64 v[10:11], v[10:11], v[12:13], v[14:15]
	v_cmp_gt_i32_e32 vcc_lo, v0, v3
	v_div_fixup_f64 v[6:7], v[10:11], v[6:7], v[8:9]
	s_delay_alu instid0(VALU_DEP_1) | instskip(NEXT) | instid1(VALU_DEP_1)
	v_dual_cndmask_b32 v3, v9, v7 :: v_dual_cndmask_b32 v2, v8, v6
	v_cmp_class_f64_e64 s31, v[2:3], 0x1f8
	s_delay_alu instid0(VALU_DEP_1)
	s_and_saveexec_b32 s1, s31
	s_cbranch_execz .LBB32_6
; %bb.14:                               ;   in Loop: Header=BB32_7 Depth=2
	v_add_co_u32 v4, vcc_lo, s10, v4
	v_add_co_ci_u32_e32 v5, vcc_lo, s11, v5, vcc_lo
	global_store_b64 v[4:5], v[2:3], off
	s_branch .LBB32_6
.LBB32_15:
	s_nop 0
	s_sendmsg sendmsg(MSG_DEALLOC_VGPRS)
	s_endpgm
	.section	.rodata,"a",@progbits
	.p2align	6, 0x0
	.amdhsa_kernel _ZN9rocsparseL16kernel_calculateILi1024ELi32ELb0EdiiEEvT4_T3_PKS2_S4_PKS1_PKT2_21rocsparse_index_base_S4_S4_S6_S4_S4_S6_S4_PS7_PNS_15floating_traitsIS7_E6data_tEPKSE_
		.amdhsa_group_segment_fixed_size 0
		.amdhsa_private_segment_fixed_size 0
		.amdhsa_kernarg_size 128
		.amdhsa_user_sgpr_count 15
		.amdhsa_user_sgpr_dispatch_ptr 0
		.amdhsa_user_sgpr_queue_ptr 0
		.amdhsa_user_sgpr_kernarg_segment_ptr 1
		.amdhsa_user_sgpr_dispatch_id 0
		.amdhsa_user_sgpr_private_segment_size 0
		.amdhsa_wavefront_size32 1
		.amdhsa_uses_dynamic_stack 0
		.amdhsa_enable_private_segment 0
		.amdhsa_system_sgpr_workgroup_id_x 1
		.amdhsa_system_sgpr_workgroup_id_y 0
		.amdhsa_system_sgpr_workgroup_id_z 0
		.amdhsa_system_sgpr_workgroup_info 0
		.amdhsa_system_vgpr_workitem_id 0
		.amdhsa_next_free_vgpr 27
		.amdhsa_next_free_sgpr 34
		.amdhsa_reserve_vcc 1
		.amdhsa_float_round_mode_32 0
		.amdhsa_float_round_mode_16_64 0
		.amdhsa_float_denorm_mode_32 3
		.amdhsa_float_denorm_mode_16_64 3
		.amdhsa_dx10_clamp 1
		.amdhsa_ieee_mode 1
		.amdhsa_fp16_overflow 0
		.amdhsa_workgroup_processor_mode 1
		.amdhsa_memory_ordered 1
		.amdhsa_forward_progress 0
		.amdhsa_shared_vgpr_count 0
		.amdhsa_exception_fp_ieee_invalid_op 0
		.amdhsa_exception_fp_denorm_src 0
		.amdhsa_exception_fp_ieee_div_zero 0
		.amdhsa_exception_fp_ieee_overflow 0
		.amdhsa_exception_fp_ieee_underflow 0
		.amdhsa_exception_fp_ieee_inexact 0
		.amdhsa_exception_int_div_zero 0
	.end_amdhsa_kernel
	.section	.text._ZN9rocsparseL16kernel_calculateILi1024ELi32ELb0EdiiEEvT4_T3_PKS2_S4_PKS1_PKT2_21rocsparse_index_base_S4_S4_S6_S4_S4_S6_S4_PS7_PNS_15floating_traitsIS7_E6data_tEPKSE_,"axG",@progbits,_ZN9rocsparseL16kernel_calculateILi1024ELi32ELb0EdiiEEvT4_T3_PKS2_S4_PKS1_PKT2_21rocsparse_index_base_S4_S4_S6_S4_S4_S6_S4_PS7_PNS_15floating_traitsIS7_E6data_tEPKSE_,comdat
.Lfunc_end32:
	.size	_ZN9rocsparseL16kernel_calculateILi1024ELi32ELb0EdiiEEvT4_T3_PKS2_S4_PKS1_PKT2_21rocsparse_index_base_S4_S4_S6_S4_S4_S6_S4_PS7_PNS_15floating_traitsIS7_E6data_tEPKSE_, .Lfunc_end32-_ZN9rocsparseL16kernel_calculateILi1024ELi32ELb0EdiiEEvT4_T3_PKS2_S4_PKS1_PKT2_21rocsparse_index_base_S4_S4_S6_S4_S4_S6_S4_PS7_PNS_15floating_traitsIS7_E6data_tEPKSE_
                                        ; -- End function
	.section	.AMDGPU.csdata,"",@progbits
; Kernel info:
; codeLenInByte = 1092
; NumSgprs: 36
; NumVgprs: 27
; ScratchSize: 0
; MemoryBound: 1
; FloatMode: 240
; IeeeMode: 1
; LDSByteSize: 0 bytes/workgroup (compile time only)
; SGPRBlocks: 4
; VGPRBlocks: 3
; NumSGPRsForWavesPerEU: 36
; NumVGPRsForWavesPerEU: 27
; Occupancy: 16
; WaveLimiterHint : 1
; COMPUTE_PGM_RSRC2:SCRATCH_EN: 0
; COMPUTE_PGM_RSRC2:USER_SGPR: 15
; COMPUTE_PGM_RSRC2:TRAP_HANDLER: 0
; COMPUTE_PGM_RSRC2:TGID_X_EN: 1
; COMPUTE_PGM_RSRC2:TGID_Y_EN: 0
; COMPUTE_PGM_RSRC2:TGID_Z_EN: 0
; COMPUTE_PGM_RSRC2:TIDIG_COMP_CNT: 0
	.section	.text._ZN9rocsparseL16kernel_calculateILi1024ELi64ELb0EdiiEEvT4_T3_PKS2_S4_PKS1_PKT2_21rocsparse_index_base_S4_S4_S6_S4_S4_S6_S4_PS7_PNS_15floating_traitsIS7_E6data_tEPKSE_,"axG",@progbits,_ZN9rocsparseL16kernel_calculateILi1024ELi64ELb0EdiiEEvT4_T3_PKS2_S4_PKS1_PKT2_21rocsparse_index_base_S4_S4_S6_S4_S4_S6_S4_PS7_PNS_15floating_traitsIS7_E6data_tEPKSE_,comdat
	.globl	_ZN9rocsparseL16kernel_calculateILi1024ELi64ELb0EdiiEEvT4_T3_PKS2_S4_PKS1_PKT2_21rocsparse_index_base_S4_S4_S6_S4_S4_S6_S4_PS7_PNS_15floating_traitsIS7_E6data_tEPKSE_ ; -- Begin function _ZN9rocsparseL16kernel_calculateILi1024ELi64ELb0EdiiEEvT4_T3_PKS2_S4_PKS1_PKT2_21rocsparse_index_base_S4_S4_S6_S4_S4_S6_S4_PS7_PNS_15floating_traitsIS7_E6data_tEPKSE_
	.p2align	8
	.type	_ZN9rocsparseL16kernel_calculateILi1024ELi64ELb0EdiiEEvT4_T3_PKS2_S4_PKS1_PKT2_21rocsparse_index_base_S4_S4_S6_S4_S4_S6_S4_PS7_PNS_15floating_traitsIS7_E6data_tEPKSE_,@function
_ZN9rocsparseL16kernel_calculateILi1024ELi64ELb0EdiiEEvT4_T3_PKS2_S4_PKS1_PKT2_21rocsparse_index_base_S4_S4_S6_S4_S4_S6_S4_PS7_PNS_15floating_traitsIS7_E6data_tEPKSE_: ; @_ZN9rocsparseL16kernel_calculateILi1024ELi64ELb0EdiiEEvT4_T3_PKS2_S4_PKS1_PKT2_21rocsparse_index_base_S4_S4_S6_S4_S4_S6_S4_PS7_PNS_15floating_traitsIS7_E6data_tEPKSE_
; %bb.0:
	s_load_b32 s2, s[0:1], 0x0
	v_lshrrev_b32_e32 v1, 6, v0
	s_mov_b32 s3, exec_lo
	s_delay_alu instid0(VALU_DEP_1) | instskip(SKIP_1) | instid1(VALU_DEP_1)
	v_lshl_or_b32 v18, s15, 10, v1
	s_waitcnt lgkmcnt(0)
	v_cmpx_gt_i32_e64 s2, v18
	s_cbranch_execz .LBB33_15
; %bb.1:
	s_clause 0x3
	s_load_b32 s3, s[0:1], 0x28
	s_load_b256 s[4:11], s[0:1], 0x50
	s_load_b256 s[12:19], s[0:1], 0x30
	;; [unrolled: 1-line block ×3, first 2 shown]
	v_and_b32_e32 v0, 63, v0
	s_mov_b32 s28, 0
	s_waitcnt lgkmcnt(0)
	s_delay_alu instid0(VALU_DEP_1)
	v_subrev_nc_u32_e32 v19, s3, v0
	s_branch .LBB33_3
.LBB33_2:                               ;   in Loop: Header=BB33_3 Depth=1
	s_or_b32 exec_lo, exec_lo, s29
	s_add_i32 s28, s28, 1
	s_delay_alu instid0(SALU_CYCLE_1)
	s_cmp_lg_u32 s28, 64
	s_cbranch_scc0 .LBB33_15
.LBB33_3:                               ; =>This Loop Header: Depth=1
                                        ;     Child Loop BB33_7 Depth 2
                                        ;       Child Loop BB33_10 Depth 3
	v_lshl_add_u32 v0, s28, 4, v18
	s_mov_b32 s29, exec_lo
	s_delay_alu instid0(VALU_DEP_1)
	v_cmpx_gt_i32_e64 s2, v0
	s_cbranch_execz .LBB33_2
; %bb.4:                                ;   in Loop: Header=BB33_3 Depth=1
	v_ashrrev_i32_e32 v1, 31, v0
	s_delay_alu instid0(VALU_DEP_1) | instskip(NEXT) | instid1(VALU_DEP_1)
	v_lshlrev_b64 v[2:3], 2, v[0:1]
	v_add_co_u32 v4, vcc_lo, s22, v2
	s_delay_alu instid0(VALU_DEP_2)
	v_add_co_ci_u32_e32 v5, vcc_lo, s23, v3, vcc_lo
	v_add_co_u32 v6, vcc_lo, s20, v2
	v_add_co_ci_u32_e32 v7, vcc_lo, s21, v3, vcc_lo
	global_load_b32 v1, v[4:5], off
	global_load_b32 v4, v[6:7], off
	s_waitcnt vmcnt(1)
	v_subrev_nc_u32_e32 v20, s3, v1
	s_waitcnt vmcnt(0)
	v_add_nc_u32_e32 v1, v19, v4
	s_delay_alu instid0(VALU_DEP_1)
	v_cmp_lt_i32_e32 vcc_lo, v1, v20
	s_and_b32 exec_lo, exec_lo, vcc_lo
	s_cbranch_execz .LBB33_2
; %bb.5:                                ;   in Loop: Header=BB33_3 Depth=1
	v_add_co_u32 v4, vcc_lo, s14, v2
	v_add_co_ci_u32_e32 v5, vcc_lo, s15, v3, vcc_lo
	v_add_co_u32 v2, vcc_lo, s12, v2
	v_add_co_ci_u32_e32 v3, vcc_lo, s13, v3, vcc_lo
	s_mov_b32 s30, 0
	global_load_b32 v4, v[4:5], off
	global_load_b32 v2, v[2:3], off
	s_waitcnt vmcnt(1)
	v_subrev_nc_u32_e32 v21, s3, v4
	s_waitcnt vmcnt(0)
	v_cmp_lt_i32_e64 s0, v2, v4
	v_subrev_nc_u32_e32 v22, s3, v2
	s_branch .LBB33_7
.LBB33_6:                               ;   in Loop: Header=BB33_7 Depth=2
	s_or_b32 exec_lo, exec_lo, s1
	v_add_nc_u32_e32 v1, 64, v1
	s_delay_alu instid0(VALU_DEP_1) | instskip(SKIP_1) | instid1(SALU_CYCLE_1)
	v_cmp_ge_i32_e32 vcc_lo, v1, v20
	s_or_b32 s30, vcc_lo, s30
	s_and_not1_b32 exec_lo, exec_lo, s30
	s_cbranch_execz .LBB33_2
.LBB33_7:                               ;   Parent Loop BB33_3 Depth=1
                                        ; =>  This Loop Header: Depth=2
                                        ;       Child Loop BB33_10 Depth 3
	v_ashrrev_i32_e32 v2, 31, v1
	s_delay_alu instid0(VALU_DEP_1) | instskip(NEXT) | instid1(VALU_DEP_1)
	v_lshlrev_b64 v[3:4], 2, v[1:2]
	v_add_co_u32 v3, vcc_lo, s24, v3
	s_delay_alu instid0(VALU_DEP_2) | instskip(SKIP_3) | instid1(VALU_DEP_1)
	v_add_co_ci_u32_e32 v4, vcc_lo, s25, v4, vcc_lo
	global_load_b32 v3, v[3:4], off
	s_waitcnt vmcnt(0)
	v_subrev_nc_u32_e32 v3, s3, v3
	v_ashrrev_i32_e32 v4, 31, v3
	s_delay_alu instid0(VALU_DEP_1) | instskip(NEXT) | instid1(VALU_DEP_1)
	v_lshlrev_b64 v[6:7], 2, v[3:4]
	v_add_co_u32 v4, vcc_lo, s14, v6
	s_delay_alu instid0(VALU_DEP_2)
	v_add_co_ci_u32_e32 v5, vcc_lo, s15, v7, vcc_lo
	v_add_co_u32 v10, vcc_lo, s4, v6
	v_add_co_ci_u32_e32 v11, vcc_lo, s5, v7, vcc_lo
	global_load_b32 v8, v[4:5], off
	v_lshlrev_b64 v[4:5], 3, v[1:2]
	v_add_co_u32 v6, vcc_lo, s18, v6
	v_add_co_ci_u32_e32 v7, vcc_lo, s19, v7, vcc_lo
	global_load_b32 v2, v[10:11], off
	global_load_b32 v12, v[6:7], off
	v_add_co_u32 v13, vcc_lo, s26, v4
	v_add_co_ci_u32_e32 v14, vcc_lo, s27, v5, vcc_lo
	v_mov_b32_e32 v10, 0
	v_mov_b32_e32 v11, 0
	s_waitcnt vmcnt(2)
	v_subrev_nc_u32_e32 v8, s3, v8
	s_delay_alu instid0(VALU_DEP_1) | instskip(NEXT) | instid1(VALU_DEP_1)
	v_ashrrev_i32_e32 v9, 31, v8
	v_lshlrev_b64 v[8:9], 3, v[8:9]
	s_delay_alu instid0(VALU_DEP_1) | instskip(NEXT) | instid1(VALU_DEP_2)
	v_add_co_u32 v6, vcc_lo, s10, v8
	v_add_co_ci_u32_e32 v7, vcc_lo, s11, v9, vcc_lo
	s_waitcnt vmcnt(0)
	v_cmp_lt_i32_e32 vcc_lo, v12, v2
	global_load_b64 v[8:9], v[13:14], off
	global_load_b64 v[6:7], v[6:7], off
	s_and_b32 s1, s0, vcc_lo
	s_delay_alu instid0(SALU_CYCLE_1)
	s_and_saveexec_b32 s31, s1
	s_cbranch_execz .LBB33_13
; %bb.8:                                ;   in Loop: Header=BB33_7 Depth=2
	v_mov_b32_e32 v10, 0
	v_subrev_nc_u32_e32 v2, s3, v2
	v_subrev_nc_u32_e32 v12, s3, v12
	v_dual_mov_b32 v11, 0 :: v_dual_mov_b32 v14, v22
	s_mov_b32 s33, 0
	s_branch .LBB33_10
.LBB33_9:                               ;   in Loop: Header=BB33_10 Depth=3
	s_or_b32 exec_lo, exec_lo, s1
	v_cmp_le_i32_e32 vcc_lo, v13, v23
	v_add_co_ci_u32_e32 v14, vcc_lo, 0, v14, vcc_lo
	v_cmp_ge_i32_e32 vcc_lo, v13, v23
	v_add_co_ci_u32_e32 v12, vcc_lo, 0, v12, vcc_lo
	s_delay_alu instid0(VALU_DEP_3) | instskip(NEXT) | instid1(VALU_DEP_2)
	v_cmp_ge_i32_e32 vcc_lo, v14, v21
	v_cmp_ge_i32_e64 s1, v12, v2
	s_delay_alu instid0(VALU_DEP_1) | instskip(NEXT) | instid1(SALU_CYCLE_1)
	s_or_b32 s1, vcc_lo, s1
	s_and_b32 s1, exec_lo, s1
	s_delay_alu instid0(SALU_CYCLE_1) | instskip(NEXT) | instid1(SALU_CYCLE_1)
	s_or_b32 s33, s1, s33
	s_and_not1_b32 exec_lo, exec_lo, s33
	s_cbranch_execz .LBB33_12
.LBB33_10:                              ;   Parent Loop BB33_3 Depth=1
                                        ;     Parent Loop BB33_7 Depth=2
                                        ; =>    This Inner Loop Header: Depth=3
	s_delay_alu instid0(VALU_DEP_1) | instskip(SKIP_2) | instid1(VALU_DEP_2)
	v_ashrrev_i32_e32 v15, 31, v14
	v_ashrrev_i32_e32 v13, 31, v12
	s_mov_b32 s1, exec_lo
	v_lshlrev_b64 v[23:24], 2, v[14:15]
	s_delay_alu instid0(VALU_DEP_2) | instskip(NEXT) | instid1(VALU_DEP_2)
	v_lshlrev_b64 v[16:17], 2, v[12:13]
	v_add_co_u32 v23, vcc_lo, s16, v23
	s_delay_alu instid0(VALU_DEP_3) | instskip(NEXT) | instid1(VALU_DEP_3)
	v_add_co_ci_u32_e32 v24, vcc_lo, s17, v24, vcc_lo
	v_add_co_u32 v25, vcc_lo, s6, v16
	s_delay_alu instid0(VALU_DEP_4)
	v_add_co_ci_u32_e32 v26, vcc_lo, s7, v17, vcc_lo
	global_load_b32 v13, v[23:24], off
	global_load_b32 v23, v[25:26], off
	s_waitcnt vmcnt(0)
	v_cmpx_eq_u32_e64 v13, v23
	s_cbranch_execz .LBB33_9
; %bb.11:                               ;   in Loop: Header=BB33_10 Depth=3
	v_add_co_u32 v16, vcc_lo, s8, v16
	v_add_co_ci_u32_e32 v17, vcc_lo, s9, v17, vcc_lo
	v_lshlrev_b64 v[24:25], 3, v[14:15]
	global_load_b32 v16, v[16:17], off
	v_add_co_u32 v24, vcc_lo, s10, v24
	v_add_co_ci_u32_e32 v25, vcc_lo, s11, v25, vcc_lo
	s_waitcnt vmcnt(0)
	v_ashrrev_i32_e32 v17, 31, v16
	s_delay_alu instid0(VALU_DEP_1) | instskip(NEXT) | instid1(VALU_DEP_1)
	v_lshlrev_b64 v[15:16], 3, v[16:17]
	v_add_co_u32 v15, vcc_lo, s10, v15
	s_delay_alu instid0(VALU_DEP_2)
	v_add_co_ci_u32_e32 v16, vcc_lo, s11, v16, vcc_lo
	s_clause 0x1
	global_load_b64 v[24:25], v[24:25], off
	global_load_b64 v[15:16], v[15:16], off
	s_waitcnt vmcnt(0)
	v_fma_f64 v[10:11], v[24:25], v[15:16], v[10:11]
	s_branch .LBB33_9
.LBB33_12:                              ;   in Loop: Header=BB33_7 Depth=2
	s_or_b32 exec_lo, exec_lo, s33
.LBB33_13:                              ;   in Loop: Header=BB33_7 Depth=2
	s_delay_alu instid0(SALU_CYCLE_1) | instskip(SKIP_3) | instid1(VALU_DEP_1)
	s_or_b32 exec_lo, exec_lo, s31
	s_waitcnt vmcnt(1)
	v_add_f64 v[8:9], v[8:9], -v[10:11]
	s_waitcnt vmcnt(0)
	v_div_scale_f64 v[10:11], null, v[6:7], v[6:7], v[8:9]
	v_div_scale_f64 v[16:17], vcc_lo, v[8:9], v[6:7], v[8:9]
	s_delay_alu instid0(VALU_DEP_2) | instskip(SKIP_2) | instid1(VALU_DEP_1)
	v_rcp_f64_e32 v[12:13], v[10:11]
	s_waitcnt_depctr 0xfff
	v_fma_f64 v[14:15], -v[10:11], v[12:13], 1.0
	v_fma_f64 v[12:13], v[12:13], v[14:15], v[12:13]
	s_delay_alu instid0(VALU_DEP_1) | instskip(NEXT) | instid1(VALU_DEP_1)
	v_fma_f64 v[14:15], -v[10:11], v[12:13], 1.0
	v_fma_f64 v[12:13], v[12:13], v[14:15], v[12:13]
	s_delay_alu instid0(VALU_DEP_1) | instskip(NEXT) | instid1(VALU_DEP_1)
	v_mul_f64 v[14:15], v[16:17], v[12:13]
	v_fma_f64 v[10:11], -v[10:11], v[14:15], v[16:17]
	s_delay_alu instid0(VALU_DEP_1) | instskip(SKIP_1) | instid1(VALU_DEP_2)
	v_div_fmas_f64 v[10:11], v[10:11], v[12:13], v[14:15]
	v_cmp_gt_i32_e32 vcc_lo, v0, v3
	v_div_fixup_f64 v[6:7], v[10:11], v[6:7], v[8:9]
	s_delay_alu instid0(VALU_DEP_1) | instskip(NEXT) | instid1(VALU_DEP_1)
	v_dual_cndmask_b32 v3, v9, v7 :: v_dual_cndmask_b32 v2, v8, v6
	v_cmp_class_f64_e64 s31, v[2:3], 0x1f8
	s_delay_alu instid0(VALU_DEP_1)
	s_and_saveexec_b32 s1, s31
	s_cbranch_execz .LBB33_6
; %bb.14:                               ;   in Loop: Header=BB33_7 Depth=2
	v_add_co_u32 v4, vcc_lo, s10, v4
	v_add_co_ci_u32_e32 v5, vcc_lo, s11, v5, vcc_lo
	global_store_b64 v[4:5], v[2:3], off
	s_branch .LBB33_6
.LBB33_15:
	s_nop 0
	s_sendmsg sendmsg(MSG_DEALLOC_VGPRS)
	s_endpgm
	.section	.rodata,"a",@progbits
	.p2align	6, 0x0
	.amdhsa_kernel _ZN9rocsparseL16kernel_calculateILi1024ELi64ELb0EdiiEEvT4_T3_PKS2_S4_PKS1_PKT2_21rocsparse_index_base_S4_S4_S6_S4_S4_S6_S4_PS7_PNS_15floating_traitsIS7_E6data_tEPKSE_
		.amdhsa_group_segment_fixed_size 0
		.amdhsa_private_segment_fixed_size 0
		.amdhsa_kernarg_size 128
		.amdhsa_user_sgpr_count 15
		.amdhsa_user_sgpr_dispatch_ptr 0
		.amdhsa_user_sgpr_queue_ptr 0
		.amdhsa_user_sgpr_kernarg_segment_ptr 1
		.amdhsa_user_sgpr_dispatch_id 0
		.amdhsa_user_sgpr_private_segment_size 0
		.amdhsa_wavefront_size32 1
		.amdhsa_uses_dynamic_stack 0
		.amdhsa_enable_private_segment 0
		.amdhsa_system_sgpr_workgroup_id_x 1
		.amdhsa_system_sgpr_workgroup_id_y 0
		.amdhsa_system_sgpr_workgroup_id_z 0
		.amdhsa_system_sgpr_workgroup_info 0
		.amdhsa_system_vgpr_workitem_id 0
		.amdhsa_next_free_vgpr 27
		.amdhsa_next_free_sgpr 34
		.amdhsa_reserve_vcc 1
		.amdhsa_float_round_mode_32 0
		.amdhsa_float_round_mode_16_64 0
		.amdhsa_float_denorm_mode_32 3
		.amdhsa_float_denorm_mode_16_64 3
		.amdhsa_dx10_clamp 1
		.amdhsa_ieee_mode 1
		.amdhsa_fp16_overflow 0
		.amdhsa_workgroup_processor_mode 1
		.amdhsa_memory_ordered 1
		.amdhsa_forward_progress 0
		.amdhsa_shared_vgpr_count 0
		.amdhsa_exception_fp_ieee_invalid_op 0
		.amdhsa_exception_fp_denorm_src 0
		.amdhsa_exception_fp_ieee_div_zero 0
		.amdhsa_exception_fp_ieee_overflow 0
		.amdhsa_exception_fp_ieee_underflow 0
		.amdhsa_exception_fp_ieee_inexact 0
		.amdhsa_exception_int_div_zero 0
	.end_amdhsa_kernel
	.section	.text._ZN9rocsparseL16kernel_calculateILi1024ELi64ELb0EdiiEEvT4_T3_PKS2_S4_PKS1_PKT2_21rocsparse_index_base_S4_S4_S6_S4_S4_S6_S4_PS7_PNS_15floating_traitsIS7_E6data_tEPKSE_,"axG",@progbits,_ZN9rocsparseL16kernel_calculateILi1024ELi64ELb0EdiiEEvT4_T3_PKS2_S4_PKS1_PKT2_21rocsparse_index_base_S4_S4_S6_S4_S4_S6_S4_PS7_PNS_15floating_traitsIS7_E6data_tEPKSE_,comdat
.Lfunc_end33:
	.size	_ZN9rocsparseL16kernel_calculateILi1024ELi64ELb0EdiiEEvT4_T3_PKS2_S4_PKS1_PKT2_21rocsparse_index_base_S4_S4_S6_S4_S4_S6_S4_PS7_PNS_15floating_traitsIS7_E6data_tEPKSE_, .Lfunc_end33-_ZN9rocsparseL16kernel_calculateILi1024ELi64ELb0EdiiEEvT4_T3_PKS2_S4_PKS1_PKT2_21rocsparse_index_base_S4_S4_S6_S4_S4_S6_S4_PS7_PNS_15floating_traitsIS7_E6data_tEPKSE_
                                        ; -- End function
	.section	.AMDGPU.csdata,"",@progbits
; Kernel info:
; codeLenInByte = 1092
; NumSgprs: 36
; NumVgprs: 27
; ScratchSize: 0
; MemoryBound: 1
; FloatMode: 240
; IeeeMode: 1
; LDSByteSize: 0 bytes/workgroup (compile time only)
; SGPRBlocks: 4
; VGPRBlocks: 3
; NumSGPRsForWavesPerEU: 36
; NumVGPRsForWavesPerEU: 27
; Occupancy: 16
; WaveLimiterHint : 1
; COMPUTE_PGM_RSRC2:SCRATCH_EN: 0
; COMPUTE_PGM_RSRC2:USER_SGPR: 15
; COMPUTE_PGM_RSRC2:TRAP_HANDLER: 0
; COMPUTE_PGM_RSRC2:TGID_X_EN: 1
; COMPUTE_PGM_RSRC2:TGID_Y_EN: 0
; COMPUTE_PGM_RSRC2:TGID_Z_EN: 0
; COMPUTE_PGM_RSRC2:TIDIG_COMP_CNT: 0
	.section	.text._ZN9rocsparseL20kernel_calculate_cooILi1024ELi32ELb0EdiiEEvT4_T3_PKS1_S4_PKT2_21rocsparse_index_base_PKS2_SA_S4_SA_SA_S4_SA_PS5_PNS_15floating_traitsIS5_E6data_tEPKSE_,"axG",@progbits,_ZN9rocsparseL20kernel_calculate_cooILi1024ELi32ELb0EdiiEEvT4_T3_PKS1_S4_PKT2_21rocsparse_index_base_PKS2_SA_S4_SA_SA_S4_SA_PS5_PNS_15floating_traitsIS5_E6data_tEPKSE_,comdat
	.globl	_ZN9rocsparseL20kernel_calculate_cooILi1024ELi32ELb0EdiiEEvT4_T3_PKS1_S4_PKT2_21rocsparse_index_base_PKS2_SA_S4_SA_SA_S4_SA_PS5_PNS_15floating_traitsIS5_E6data_tEPKSE_ ; -- Begin function _ZN9rocsparseL20kernel_calculate_cooILi1024ELi32ELb0EdiiEEvT4_T3_PKS1_S4_PKT2_21rocsparse_index_base_PKS2_SA_S4_SA_SA_S4_SA_PS5_PNS_15floating_traitsIS5_E6data_tEPKSE_
	.p2align	8
	.type	_ZN9rocsparseL20kernel_calculate_cooILi1024ELi32ELb0EdiiEEvT4_T3_PKS1_S4_PKT2_21rocsparse_index_base_PKS2_SA_S4_SA_SA_S4_SA_PS5_PNS_15floating_traitsIS5_E6data_tEPKSE_,@function
_ZN9rocsparseL20kernel_calculate_cooILi1024ELi32ELb0EdiiEEvT4_T3_PKS1_S4_PKT2_21rocsparse_index_base_PKS2_SA_S4_SA_SA_S4_SA_PS5_PNS_15floating_traitsIS5_E6data_tEPKSE_: ; @_ZN9rocsparseL20kernel_calculate_cooILi1024ELi32ELb0EdiiEEvT4_T3_PKS1_S4_PKT2_21rocsparse_index_base_PKS2_SA_S4_SA_SA_S4_SA_PS5_PNS_15floating_traitsIS5_E6data_tEPKSE_
; %bb.0:
	s_load_b32 s24, s[0:1], 0x4
	v_lshl_or_b32 v0, s15, 16, v0
	s_mov_b32 s2, exec_lo
	s_waitcnt lgkmcnt(0)
	s_delay_alu instid0(VALU_DEP_1)
	v_cmpx_gt_i32_e64 s24, v0
	s_cbranch_execz .LBB34_12
; %bb.1:
	s_clause 0x4
	s_load_b256 s[4:11], s[0:1], 0x48
	s_load_b128 s[20:23], s[0:1], 0x8
	s_load_b64 s[2:3], s[0:1], 0x18
	s_load_b256 s[12:19], s[0:1], 0x28
	s_load_b32 s1, s[0:1], 0x20
	s_mov_b32 s25, 0
	s_branch .LBB34_3
.LBB34_2:                               ;   in Loop: Header=BB34_3 Depth=1
	s_or_b32 exec_lo, exec_lo, s26
	v_add_nc_u32_e32 v0, 0x400, v0
	s_add_i32 s25, s25, 1
	s_delay_alu instid0(SALU_CYCLE_1)
	s_cmp_lg_u32 s25, 64
	s_cbranch_scc0 .LBB34_12
.LBB34_3:                               ; =>This Loop Header: Depth=1
                                        ;     Child Loop BB34_7 Depth 2
	s_mov_b32 s26, exec_lo
	v_cmpx_gt_i32_e64 s24, v0
	s_cbranch_execz .LBB34_2
; %bb.4:                                ;   in Loop: Header=BB34_3 Depth=1
	v_ashrrev_i32_e32 v1, 31, v0
	s_delay_alu instid0(VALU_DEP_1) | instskip(SKIP_1) | instid1(VALU_DEP_1)
	v_lshlrev_b64 v[2:3], 2, v[0:1]
	s_waitcnt lgkmcnt(0)
	v_add_co_u32 v4, vcc_lo, s22, v2
	s_delay_alu instid0(VALU_DEP_2)
	v_add_co_ci_u32_e32 v5, vcc_lo, s23, v3, vcc_lo
	v_add_co_u32 v2, vcc_lo, s20, v2
	v_add_co_ci_u32_e32 v3, vcc_lo, s21, v3, vcc_lo
	global_load_b32 v15, v[4:5], off
	global_load_b32 v16, v[2:3], off
	s_waitcnt vmcnt(1)
	v_subrev_nc_u32_e32 v2, s1, v15
	s_delay_alu instid0(VALU_DEP_1) | instskip(NEXT) | instid1(VALU_DEP_1)
	v_ashrrev_i32_e32 v3, 31, v2
	v_lshlrev_b64 v[3:4], 2, v[2:3]
	v_lshlrev_b64 v[1:2], 3, v[0:1]
	s_delay_alu instid0(VALU_DEP_2) | instskip(NEXT) | instid1(VALU_DEP_3)
	v_add_co_u32 v5, vcc_lo, s14, v3
	v_add_co_ci_u32_e32 v6, vcc_lo, s15, v4, vcc_lo
	global_load_b32 v10, v[5:6], off
	s_waitcnt vmcnt(1)
	v_subrev_nc_u32_e32 v5, s1, v16
	s_delay_alu instid0(VALU_DEP_1) | instskip(NEXT) | instid1(VALU_DEP_1)
	v_ashrrev_i32_e32 v6, 31, v5
	v_lshlrev_b64 v[5:6], 2, v[5:6]
	s_delay_alu instid0(VALU_DEP_1) | instskip(NEXT) | instid1(VALU_DEP_2)
	v_add_co_u32 v7, vcc_lo, s14, v5
	v_add_co_ci_u32_e32 v8, vcc_lo, s15, v6, vcc_lo
	global_load_b32 v9, v[7:8], off
	v_add_co_u32 v7, vcc_lo, s4, v3
	v_add_co_ci_u32_e32 v8, vcc_lo, s5, v4, vcc_lo
	v_add_co_u32 v5, vcc_lo, s12, v5
	v_add_co_ci_u32_e32 v6, vcc_lo, s13, v6, vcc_lo
	;; [unrolled: 2-line block ×4, first 2 shown]
	s_waitcnt vmcnt(1)
	v_subrev_nc_u32_e32 v10, s1, v10
	s_delay_alu instid0(VALU_DEP_1) | instskip(NEXT) | instid1(VALU_DEP_1)
	v_ashrrev_i32_e32 v11, 31, v10
	v_lshlrev_b64 v[13:14], 3, v[10:11]
	global_load_b32 v11, v[7:8], off
	global_load_b32 v10, v[5:6], off
	;; [unrolled: 1-line block ×3, first 2 shown]
	v_mov_b32_e32 v7, 0
	v_mov_b32_e32 v8, 0
	v_add_co_u32 v3, vcc_lo, s10, v13
	v_add_co_ci_u32_e32 v4, vcc_lo, s11, v14, vcc_lo
	global_load_b64 v[5:6], v[17:18], off
	global_load_b64 v[3:4], v[3:4], off
	s_waitcnt vmcnt(3)
	v_cmp_lt_i32_e32 vcc_lo, v10, v9
	s_waitcnt vmcnt(2)
	v_cmp_lt_i32_e64 s0, v12, v11
	s_delay_alu instid0(VALU_DEP_1) | instskip(NEXT) | instid1(SALU_CYCLE_1)
	s_and_b32 s0, vcc_lo, s0
	s_and_saveexec_b32 s27, s0
	s_cbranch_execz .LBB34_10
; %bb.5:                                ;   in Loop: Header=BB34_3 Depth=1
	v_mov_b32_e32 v7, 0
	v_subrev_nc_u32_e32 v17, s1, v11
	v_subrev_nc_u32_e32 v18, s1, v9
	;; [unrolled: 1-line block ×3, first 2 shown]
	v_mov_b32_e32 v8, 0
	v_subrev_nc_u32_e32 v11, s1, v10
	s_mov_b32 s28, 0
	s_branch .LBB34_7
.LBB34_6:                               ;   in Loop: Header=BB34_7 Depth=2
	s_or_b32 exec_lo, exec_lo, s0
	v_cmp_le_i32_e32 vcc_lo, v10, v19
	v_add_co_ci_u32_e32 v11, vcc_lo, 0, v11, vcc_lo
	v_cmp_ge_i32_e32 vcc_lo, v10, v19
	v_add_co_ci_u32_e32 v9, vcc_lo, 0, v9, vcc_lo
	s_delay_alu instid0(VALU_DEP_3) | instskip(NEXT) | instid1(VALU_DEP_2)
	v_cmp_ge_i32_e32 vcc_lo, v11, v18
	v_cmp_ge_i32_e64 s0, v9, v17
	s_delay_alu instid0(VALU_DEP_1) | instskip(NEXT) | instid1(SALU_CYCLE_1)
	s_or_b32 s0, vcc_lo, s0
	s_and_b32 s0, exec_lo, s0
	s_delay_alu instid0(SALU_CYCLE_1) | instskip(NEXT) | instid1(SALU_CYCLE_1)
	s_or_b32 s28, s0, s28
	s_and_not1_b32 exec_lo, exec_lo, s28
	s_cbranch_execz .LBB34_9
.LBB34_7:                               ;   Parent Loop BB34_3 Depth=1
                                        ; =>  This Inner Loop Header: Depth=2
	s_delay_alu instid0(VALU_DEP_1) | instskip(SKIP_2) | instid1(VALU_DEP_2)
	v_ashrrev_i32_e32 v12, 31, v11
	v_ashrrev_i32_e32 v10, 31, v9
	s_mov_b32 s0, exec_lo
	v_lshlrev_b64 v[19:20], 2, v[11:12]
	s_delay_alu instid0(VALU_DEP_2) | instskip(NEXT) | instid1(VALU_DEP_2)
	v_lshlrev_b64 v[13:14], 2, v[9:10]
	v_add_co_u32 v19, vcc_lo, s16, v19
	s_delay_alu instid0(VALU_DEP_3) | instskip(NEXT) | instid1(VALU_DEP_3)
	v_add_co_ci_u32_e32 v20, vcc_lo, s17, v20, vcc_lo
	v_add_co_u32 v21, vcc_lo, s6, v13
	s_delay_alu instid0(VALU_DEP_4)
	v_add_co_ci_u32_e32 v22, vcc_lo, s7, v14, vcc_lo
	global_load_b32 v10, v[19:20], off
	global_load_b32 v19, v[21:22], off
	s_waitcnt vmcnt(0)
	v_cmpx_eq_u32_e64 v10, v19
	s_cbranch_execz .LBB34_6
; %bb.8:                                ;   in Loop: Header=BB34_7 Depth=2
	v_add_co_u32 v13, vcc_lo, s8, v13
	v_add_co_ci_u32_e32 v14, vcc_lo, s9, v14, vcc_lo
	v_lshlrev_b64 v[20:21], 3, v[11:12]
	global_load_b32 v13, v[13:14], off
	v_add_co_u32 v20, vcc_lo, s10, v20
	v_add_co_ci_u32_e32 v21, vcc_lo, s11, v21, vcc_lo
	s_waitcnt vmcnt(0)
	v_ashrrev_i32_e32 v14, 31, v13
	s_delay_alu instid0(VALU_DEP_1) | instskip(NEXT) | instid1(VALU_DEP_1)
	v_lshlrev_b64 v[12:13], 3, v[13:14]
	v_add_co_u32 v12, vcc_lo, s10, v12
	s_delay_alu instid0(VALU_DEP_2)
	v_add_co_ci_u32_e32 v13, vcc_lo, s11, v13, vcc_lo
	s_clause 0x1
	global_load_b64 v[20:21], v[20:21], off
	global_load_b64 v[12:13], v[12:13], off
	s_waitcnt vmcnt(0)
	v_fma_f64 v[7:8], v[20:21], v[12:13], v[7:8]
	s_branch .LBB34_6
.LBB34_9:                               ;   in Loop: Header=BB34_3 Depth=1
	s_or_b32 exec_lo, exec_lo, s28
.LBB34_10:                              ;   in Loop: Header=BB34_3 Depth=1
	s_delay_alu instid0(SALU_CYCLE_1) | instskip(SKIP_3) | instid1(VALU_DEP_1)
	s_or_b32 exec_lo, exec_lo, s27
	s_waitcnt vmcnt(1)
	v_add_f64 v[5:6], v[5:6], -v[7:8]
	s_waitcnt vmcnt(0)
	v_div_scale_f64 v[7:8], null, v[3:4], v[3:4], v[5:6]
	v_div_scale_f64 v[13:14], vcc_lo, v[5:6], v[3:4], v[5:6]
	s_delay_alu instid0(VALU_DEP_2) | instskip(SKIP_2) | instid1(VALU_DEP_1)
	v_rcp_f64_e32 v[9:10], v[7:8]
	s_waitcnt_depctr 0xfff
	v_fma_f64 v[11:12], -v[7:8], v[9:10], 1.0
	v_fma_f64 v[9:10], v[9:10], v[11:12], v[9:10]
	s_delay_alu instid0(VALU_DEP_1) | instskip(NEXT) | instid1(VALU_DEP_1)
	v_fma_f64 v[11:12], -v[7:8], v[9:10], 1.0
	v_fma_f64 v[9:10], v[9:10], v[11:12], v[9:10]
	s_delay_alu instid0(VALU_DEP_1) | instskip(NEXT) | instid1(VALU_DEP_1)
	v_mul_f64 v[11:12], v[13:14], v[9:10]
	v_fma_f64 v[7:8], -v[7:8], v[11:12], v[13:14]
	s_delay_alu instid0(VALU_DEP_1) | instskip(SKIP_1) | instid1(VALU_DEP_2)
	v_div_fmas_f64 v[7:8], v[7:8], v[9:10], v[11:12]
	v_cmp_gt_i32_e32 vcc_lo, v16, v15
	v_div_fixup_f64 v[3:4], v[7:8], v[3:4], v[5:6]
	s_delay_alu instid0(VALU_DEP_1) | instskip(NEXT) | instid1(VALU_DEP_1)
	v_dual_cndmask_b32 v4, v6, v4 :: v_dual_cndmask_b32 v3, v5, v3
	v_cmp_class_f64_e64 s0, v[3:4], 0x1f8
	s_delay_alu instid0(VALU_DEP_1)
	s_and_b32 exec_lo, exec_lo, s0
	s_cbranch_execz .LBB34_2
; %bb.11:                               ;   in Loop: Header=BB34_3 Depth=1
	v_add_co_u32 v1, vcc_lo, s10, v1
	v_add_co_ci_u32_e32 v2, vcc_lo, s11, v2, vcc_lo
	global_store_b64 v[1:2], v[3:4], off
	s_branch .LBB34_2
.LBB34_12:
	s_nop 0
	s_sendmsg sendmsg(MSG_DEALLOC_VGPRS)
	s_endpgm
	.section	.rodata,"a",@progbits
	.p2align	6, 0x0
	.amdhsa_kernel _ZN9rocsparseL20kernel_calculate_cooILi1024ELi32ELb0EdiiEEvT4_T3_PKS1_S4_PKT2_21rocsparse_index_base_PKS2_SA_S4_SA_SA_S4_SA_PS5_PNS_15floating_traitsIS5_E6data_tEPKSE_
		.amdhsa_group_segment_fixed_size 0
		.amdhsa_private_segment_fixed_size 0
		.amdhsa_kernarg_size 120
		.amdhsa_user_sgpr_count 15
		.amdhsa_user_sgpr_dispatch_ptr 0
		.amdhsa_user_sgpr_queue_ptr 0
		.amdhsa_user_sgpr_kernarg_segment_ptr 1
		.amdhsa_user_sgpr_dispatch_id 0
		.amdhsa_user_sgpr_private_segment_size 0
		.amdhsa_wavefront_size32 1
		.amdhsa_uses_dynamic_stack 0
		.amdhsa_enable_private_segment 0
		.amdhsa_system_sgpr_workgroup_id_x 1
		.amdhsa_system_sgpr_workgroup_id_y 0
		.amdhsa_system_sgpr_workgroup_id_z 0
		.amdhsa_system_sgpr_workgroup_info 0
		.amdhsa_system_vgpr_workitem_id 0
		.amdhsa_next_free_vgpr 23
		.amdhsa_next_free_sgpr 29
		.amdhsa_reserve_vcc 1
		.amdhsa_float_round_mode_32 0
		.amdhsa_float_round_mode_16_64 0
		.amdhsa_float_denorm_mode_32 3
		.amdhsa_float_denorm_mode_16_64 3
		.amdhsa_dx10_clamp 1
		.amdhsa_ieee_mode 1
		.amdhsa_fp16_overflow 0
		.amdhsa_workgroup_processor_mode 1
		.amdhsa_memory_ordered 1
		.amdhsa_forward_progress 0
		.amdhsa_shared_vgpr_count 0
		.amdhsa_exception_fp_ieee_invalid_op 0
		.amdhsa_exception_fp_denorm_src 0
		.amdhsa_exception_fp_ieee_div_zero 0
		.amdhsa_exception_fp_ieee_overflow 0
		.amdhsa_exception_fp_ieee_underflow 0
		.amdhsa_exception_fp_ieee_inexact 0
		.amdhsa_exception_int_div_zero 0
	.end_amdhsa_kernel
	.section	.text._ZN9rocsparseL20kernel_calculate_cooILi1024ELi32ELb0EdiiEEvT4_T3_PKS1_S4_PKT2_21rocsparse_index_base_PKS2_SA_S4_SA_SA_S4_SA_PS5_PNS_15floating_traitsIS5_E6data_tEPKSE_,"axG",@progbits,_ZN9rocsparseL20kernel_calculate_cooILi1024ELi32ELb0EdiiEEvT4_T3_PKS1_S4_PKT2_21rocsparse_index_base_PKS2_SA_S4_SA_SA_S4_SA_PS5_PNS_15floating_traitsIS5_E6data_tEPKSE_,comdat
.Lfunc_end34:
	.size	_ZN9rocsparseL20kernel_calculate_cooILi1024ELi32ELb0EdiiEEvT4_T3_PKS1_S4_PKT2_21rocsparse_index_base_PKS2_SA_S4_SA_SA_S4_SA_PS5_PNS_15floating_traitsIS5_E6data_tEPKSE_, .Lfunc_end34-_ZN9rocsparseL20kernel_calculate_cooILi1024ELi32ELb0EdiiEEvT4_T3_PKS1_S4_PKT2_21rocsparse_index_base_PKS2_SA_S4_SA_SA_S4_SA_PS5_PNS_15floating_traitsIS5_E6data_tEPKSE_
                                        ; -- End function
	.section	.AMDGPU.csdata,"",@progbits
; Kernel info:
; codeLenInByte = 988
; NumSgprs: 31
; NumVgprs: 23
; ScratchSize: 0
; MemoryBound: 1
; FloatMode: 240
; IeeeMode: 1
; LDSByteSize: 0 bytes/workgroup (compile time only)
; SGPRBlocks: 3
; VGPRBlocks: 2
; NumSGPRsForWavesPerEU: 31
; NumVGPRsForWavesPerEU: 23
; Occupancy: 16
; WaveLimiterHint : 1
; COMPUTE_PGM_RSRC2:SCRATCH_EN: 0
; COMPUTE_PGM_RSRC2:USER_SGPR: 15
; COMPUTE_PGM_RSRC2:TRAP_HANDLER: 0
; COMPUTE_PGM_RSRC2:TGID_X_EN: 1
; COMPUTE_PGM_RSRC2:TGID_Y_EN: 0
; COMPUTE_PGM_RSRC2:TGID_Z_EN: 0
; COMPUTE_PGM_RSRC2:TIDIG_COMP_CNT: 0
	.section	.text._ZN9rocsparseL20kernel_calculate_cooILi1024ELi64ELb0EdiiEEvT4_T3_PKS1_S4_PKT2_21rocsparse_index_base_PKS2_SA_S4_SA_SA_S4_SA_PS5_PNS_15floating_traitsIS5_E6data_tEPKSE_,"axG",@progbits,_ZN9rocsparseL20kernel_calculate_cooILi1024ELi64ELb0EdiiEEvT4_T3_PKS1_S4_PKT2_21rocsparse_index_base_PKS2_SA_S4_SA_SA_S4_SA_PS5_PNS_15floating_traitsIS5_E6data_tEPKSE_,comdat
	.globl	_ZN9rocsparseL20kernel_calculate_cooILi1024ELi64ELb0EdiiEEvT4_T3_PKS1_S4_PKT2_21rocsparse_index_base_PKS2_SA_S4_SA_SA_S4_SA_PS5_PNS_15floating_traitsIS5_E6data_tEPKSE_ ; -- Begin function _ZN9rocsparseL20kernel_calculate_cooILi1024ELi64ELb0EdiiEEvT4_T3_PKS1_S4_PKT2_21rocsparse_index_base_PKS2_SA_S4_SA_SA_S4_SA_PS5_PNS_15floating_traitsIS5_E6data_tEPKSE_
	.p2align	8
	.type	_ZN9rocsparseL20kernel_calculate_cooILi1024ELi64ELb0EdiiEEvT4_T3_PKS1_S4_PKT2_21rocsparse_index_base_PKS2_SA_S4_SA_SA_S4_SA_PS5_PNS_15floating_traitsIS5_E6data_tEPKSE_,@function
_ZN9rocsparseL20kernel_calculate_cooILi1024ELi64ELb0EdiiEEvT4_T3_PKS1_S4_PKT2_21rocsparse_index_base_PKS2_SA_S4_SA_SA_S4_SA_PS5_PNS_15floating_traitsIS5_E6data_tEPKSE_: ; @_ZN9rocsparseL20kernel_calculate_cooILi1024ELi64ELb0EdiiEEvT4_T3_PKS1_S4_PKT2_21rocsparse_index_base_PKS2_SA_S4_SA_SA_S4_SA_PS5_PNS_15floating_traitsIS5_E6data_tEPKSE_
; %bb.0:
	s_load_b32 s24, s[0:1], 0x4
	v_lshl_or_b32 v0, s15, 16, v0
	s_mov_b32 s2, exec_lo
	s_waitcnt lgkmcnt(0)
	s_delay_alu instid0(VALU_DEP_1)
	v_cmpx_gt_i32_e64 s24, v0
	s_cbranch_execz .LBB35_12
; %bb.1:
	s_clause 0x4
	s_load_b256 s[4:11], s[0:1], 0x48
	s_load_b128 s[20:23], s[0:1], 0x8
	s_load_b64 s[2:3], s[0:1], 0x18
	s_load_b256 s[12:19], s[0:1], 0x28
	s_load_b32 s1, s[0:1], 0x20
	s_mov_b32 s25, 0
	s_branch .LBB35_3
.LBB35_2:                               ;   in Loop: Header=BB35_3 Depth=1
	s_or_b32 exec_lo, exec_lo, s26
	v_add_nc_u32_e32 v0, 0x400, v0
	s_add_i32 s25, s25, 1
	s_delay_alu instid0(SALU_CYCLE_1)
	s_cmp_lg_u32 s25, 64
	s_cbranch_scc0 .LBB35_12
.LBB35_3:                               ; =>This Loop Header: Depth=1
                                        ;     Child Loop BB35_7 Depth 2
	s_mov_b32 s26, exec_lo
	v_cmpx_gt_i32_e64 s24, v0
	s_cbranch_execz .LBB35_2
; %bb.4:                                ;   in Loop: Header=BB35_3 Depth=1
	v_ashrrev_i32_e32 v1, 31, v0
	s_delay_alu instid0(VALU_DEP_1) | instskip(SKIP_1) | instid1(VALU_DEP_1)
	v_lshlrev_b64 v[2:3], 2, v[0:1]
	s_waitcnt lgkmcnt(0)
	v_add_co_u32 v4, vcc_lo, s22, v2
	s_delay_alu instid0(VALU_DEP_2)
	v_add_co_ci_u32_e32 v5, vcc_lo, s23, v3, vcc_lo
	v_add_co_u32 v2, vcc_lo, s20, v2
	v_add_co_ci_u32_e32 v3, vcc_lo, s21, v3, vcc_lo
	global_load_b32 v15, v[4:5], off
	global_load_b32 v16, v[2:3], off
	s_waitcnt vmcnt(1)
	v_subrev_nc_u32_e32 v2, s1, v15
	s_delay_alu instid0(VALU_DEP_1) | instskip(NEXT) | instid1(VALU_DEP_1)
	v_ashrrev_i32_e32 v3, 31, v2
	v_lshlrev_b64 v[3:4], 2, v[2:3]
	v_lshlrev_b64 v[1:2], 3, v[0:1]
	s_delay_alu instid0(VALU_DEP_2) | instskip(NEXT) | instid1(VALU_DEP_3)
	v_add_co_u32 v5, vcc_lo, s14, v3
	v_add_co_ci_u32_e32 v6, vcc_lo, s15, v4, vcc_lo
	global_load_b32 v10, v[5:6], off
	s_waitcnt vmcnt(1)
	v_subrev_nc_u32_e32 v5, s1, v16
	s_delay_alu instid0(VALU_DEP_1) | instskip(NEXT) | instid1(VALU_DEP_1)
	v_ashrrev_i32_e32 v6, 31, v5
	v_lshlrev_b64 v[5:6], 2, v[5:6]
	s_delay_alu instid0(VALU_DEP_1) | instskip(NEXT) | instid1(VALU_DEP_2)
	v_add_co_u32 v7, vcc_lo, s14, v5
	v_add_co_ci_u32_e32 v8, vcc_lo, s15, v6, vcc_lo
	global_load_b32 v9, v[7:8], off
	v_add_co_u32 v7, vcc_lo, s4, v3
	v_add_co_ci_u32_e32 v8, vcc_lo, s5, v4, vcc_lo
	v_add_co_u32 v5, vcc_lo, s12, v5
	v_add_co_ci_u32_e32 v6, vcc_lo, s13, v6, vcc_lo
	;; [unrolled: 2-line block ×4, first 2 shown]
	s_waitcnt vmcnt(1)
	v_subrev_nc_u32_e32 v10, s1, v10
	s_delay_alu instid0(VALU_DEP_1) | instskip(NEXT) | instid1(VALU_DEP_1)
	v_ashrrev_i32_e32 v11, 31, v10
	v_lshlrev_b64 v[13:14], 3, v[10:11]
	global_load_b32 v11, v[7:8], off
	global_load_b32 v10, v[5:6], off
	;; [unrolled: 1-line block ×3, first 2 shown]
	v_mov_b32_e32 v7, 0
	v_mov_b32_e32 v8, 0
	v_add_co_u32 v3, vcc_lo, s10, v13
	v_add_co_ci_u32_e32 v4, vcc_lo, s11, v14, vcc_lo
	global_load_b64 v[5:6], v[17:18], off
	global_load_b64 v[3:4], v[3:4], off
	s_waitcnt vmcnt(3)
	v_cmp_lt_i32_e32 vcc_lo, v10, v9
	s_waitcnt vmcnt(2)
	v_cmp_lt_i32_e64 s0, v12, v11
	s_delay_alu instid0(VALU_DEP_1) | instskip(NEXT) | instid1(SALU_CYCLE_1)
	s_and_b32 s0, vcc_lo, s0
	s_and_saveexec_b32 s27, s0
	s_cbranch_execz .LBB35_10
; %bb.5:                                ;   in Loop: Header=BB35_3 Depth=1
	v_mov_b32_e32 v7, 0
	v_subrev_nc_u32_e32 v17, s1, v11
	v_subrev_nc_u32_e32 v18, s1, v9
	;; [unrolled: 1-line block ×3, first 2 shown]
	v_mov_b32_e32 v8, 0
	v_subrev_nc_u32_e32 v11, s1, v10
	s_mov_b32 s28, 0
	s_branch .LBB35_7
.LBB35_6:                               ;   in Loop: Header=BB35_7 Depth=2
	s_or_b32 exec_lo, exec_lo, s0
	v_cmp_le_i32_e32 vcc_lo, v10, v19
	v_add_co_ci_u32_e32 v11, vcc_lo, 0, v11, vcc_lo
	v_cmp_ge_i32_e32 vcc_lo, v10, v19
	v_add_co_ci_u32_e32 v9, vcc_lo, 0, v9, vcc_lo
	s_delay_alu instid0(VALU_DEP_3) | instskip(NEXT) | instid1(VALU_DEP_2)
	v_cmp_ge_i32_e32 vcc_lo, v11, v18
	v_cmp_ge_i32_e64 s0, v9, v17
	s_delay_alu instid0(VALU_DEP_1) | instskip(NEXT) | instid1(SALU_CYCLE_1)
	s_or_b32 s0, vcc_lo, s0
	s_and_b32 s0, exec_lo, s0
	s_delay_alu instid0(SALU_CYCLE_1) | instskip(NEXT) | instid1(SALU_CYCLE_1)
	s_or_b32 s28, s0, s28
	s_and_not1_b32 exec_lo, exec_lo, s28
	s_cbranch_execz .LBB35_9
.LBB35_7:                               ;   Parent Loop BB35_3 Depth=1
                                        ; =>  This Inner Loop Header: Depth=2
	s_delay_alu instid0(VALU_DEP_1) | instskip(SKIP_2) | instid1(VALU_DEP_2)
	v_ashrrev_i32_e32 v12, 31, v11
	v_ashrrev_i32_e32 v10, 31, v9
	s_mov_b32 s0, exec_lo
	v_lshlrev_b64 v[19:20], 2, v[11:12]
	s_delay_alu instid0(VALU_DEP_2) | instskip(NEXT) | instid1(VALU_DEP_2)
	v_lshlrev_b64 v[13:14], 2, v[9:10]
	v_add_co_u32 v19, vcc_lo, s16, v19
	s_delay_alu instid0(VALU_DEP_3) | instskip(NEXT) | instid1(VALU_DEP_3)
	v_add_co_ci_u32_e32 v20, vcc_lo, s17, v20, vcc_lo
	v_add_co_u32 v21, vcc_lo, s6, v13
	s_delay_alu instid0(VALU_DEP_4)
	v_add_co_ci_u32_e32 v22, vcc_lo, s7, v14, vcc_lo
	global_load_b32 v10, v[19:20], off
	global_load_b32 v19, v[21:22], off
	s_waitcnt vmcnt(0)
	v_cmpx_eq_u32_e64 v10, v19
	s_cbranch_execz .LBB35_6
; %bb.8:                                ;   in Loop: Header=BB35_7 Depth=2
	v_add_co_u32 v13, vcc_lo, s8, v13
	v_add_co_ci_u32_e32 v14, vcc_lo, s9, v14, vcc_lo
	v_lshlrev_b64 v[20:21], 3, v[11:12]
	global_load_b32 v13, v[13:14], off
	v_add_co_u32 v20, vcc_lo, s10, v20
	v_add_co_ci_u32_e32 v21, vcc_lo, s11, v21, vcc_lo
	s_waitcnt vmcnt(0)
	v_ashrrev_i32_e32 v14, 31, v13
	s_delay_alu instid0(VALU_DEP_1) | instskip(NEXT) | instid1(VALU_DEP_1)
	v_lshlrev_b64 v[12:13], 3, v[13:14]
	v_add_co_u32 v12, vcc_lo, s10, v12
	s_delay_alu instid0(VALU_DEP_2)
	v_add_co_ci_u32_e32 v13, vcc_lo, s11, v13, vcc_lo
	s_clause 0x1
	global_load_b64 v[20:21], v[20:21], off
	global_load_b64 v[12:13], v[12:13], off
	s_waitcnt vmcnt(0)
	v_fma_f64 v[7:8], v[20:21], v[12:13], v[7:8]
	s_branch .LBB35_6
.LBB35_9:                               ;   in Loop: Header=BB35_3 Depth=1
	s_or_b32 exec_lo, exec_lo, s28
.LBB35_10:                              ;   in Loop: Header=BB35_3 Depth=1
	s_delay_alu instid0(SALU_CYCLE_1) | instskip(SKIP_3) | instid1(VALU_DEP_1)
	s_or_b32 exec_lo, exec_lo, s27
	s_waitcnt vmcnt(1)
	v_add_f64 v[5:6], v[5:6], -v[7:8]
	s_waitcnt vmcnt(0)
	v_div_scale_f64 v[7:8], null, v[3:4], v[3:4], v[5:6]
	v_div_scale_f64 v[13:14], vcc_lo, v[5:6], v[3:4], v[5:6]
	s_delay_alu instid0(VALU_DEP_2) | instskip(SKIP_2) | instid1(VALU_DEP_1)
	v_rcp_f64_e32 v[9:10], v[7:8]
	s_waitcnt_depctr 0xfff
	v_fma_f64 v[11:12], -v[7:8], v[9:10], 1.0
	v_fma_f64 v[9:10], v[9:10], v[11:12], v[9:10]
	s_delay_alu instid0(VALU_DEP_1) | instskip(NEXT) | instid1(VALU_DEP_1)
	v_fma_f64 v[11:12], -v[7:8], v[9:10], 1.0
	v_fma_f64 v[9:10], v[9:10], v[11:12], v[9:10]
	s_delay_alu instid0(VALU_DEP_1) | instskip(NEXT) | instid1(VALU_DEP_1)
	v_mul_f64 v[11:12], v[13:14], v[9:10]
	v_fma_f64 v[7:8], -v[7:8], v[11:12], v[13:14]
	s_delay_alu instid0(VALU_DEP_1) | instskip(SKIP_1) | instid1(VALU_DEP_2)
	v_div_fmas_f64 v[7:8], v[7:8], v[9:10], v[11:12]
	v_cmp_gt_i32_e32 vcc_lo, v16, v15
	v_div_fixup_f64 v[3:4], v[7:8], v[3:4], v[5:6]
	s_delay_alu instid0(VALU_DEP_1) | instskip(NEXT) | instid1(VALU_DEP_1)
	v_dual_cndmask_b32 v4, v6, v4 :: v_dual_cndmask_b32 v3, v5, v3
	v_cmp_class_f64_e64 s0, v[3:4], 0x1f8
	s_delay_alu instid0(VALU_DEP_1)
	s_and_b32 exec_lo, exec_lo, s0
	s_cbranch_execz .LBB35_2
; %bb.11:                               ;   in Loop: Header=BB35_3 Depth=1
	v_add_co_u32 v1, vcc_lo, s10, v1
	v_add_co_ci_u32_e32 v2, vcc_lo, s11, v2, vcc_lo
	global_store_b64 v[1:2], v[3:4], off
	s_branch .LBB35_2
.LBB35_12:
	s_nop 0
	s_sendmsg sendmsg(MSG_DEALLOC_VGPRS)
	s_endpgm
	.section	.rodata,"a",@progbits
	.p2align	6, 0x0
	.amdhsa_kernel _ZN9rocsparseL20kernel_calculate_cooILi1024ELi64ELb0EdiiEEvT4_T3_PKS1_S4_PKT2_21rocsparse_index_base_PKS2_SA_S4_SA_SA_S4_SA_PS5_PNS_15floating_traitsIS5_E6data_tEPKSE_
		.amdhsa_group_segment_fixed_size 0
		.amdhsa_private_segment_fixed_size 0
		.amdhsa_kernarg_size 120
		.amdhsa_user_sgpr_count 15
		.amdhsa_user_sgpr_dispatch_ptr 0
		.amdhsa_user_sgpr_queue_ptr 0
		.amdhsa_user_sgpr_kernarg_segment_ptr 1
		.amdhsa_user_sgpr_dispatch_id 0
		.amdhsa_user_sgpr_private_segment_size 0
		.amdhsa_wavefront_size32 1
		.amdhsa_uses_dynamic_stack 0
		.amdhsa_enable_private_segment 0
		.amdhsa_system_sgpr_workgroup_id_x 1
		.amdhsa_system_sgpr_workgroup_id_y 0
		.amdhsa_system_sgpr_workgroup_id_z 0
		.amdhsa_system_sgpr_workgroup_info 0
		.amdhsa_system_vgpr_workitem_id 0
		.amdhsa_next_free_vgpr 23
		.amdhsa_next_free_sgpr 29
		.amdhsa_reserve_vcc 1
		.amdhsa_float_round_mode_32 0
		.amdhsa_float_round_mode_16_64 0
		.amdhsa_float_denorm_mode_32 3
		.amdhsa_float_denorm_mode_16_64 3
		.amdhsa_dx10_clamp 1
		.amdhsa_ieee_mode 1
		.amdhsa_fp16_overflow 0
		.amdhsa_workgroup_processor_mode 1
		.amdhsa_memory_ordered 1
		.amdhsa_forward_progress 0
		.amdhsa_shared_vgpr_count 0
		.amdhsa_exception_fp_ieee_invalid_op 0
		.amdhsa_exception_fp_denorm_src 0
		.amdhsa_exception_fp_ieee_div_zero 0
		.amdhsa_exception_fp_ieee_overflow 0
		.amdhsa_exception_fp_ieee_underflow 0
		.amdhsa_exception_fp_ieee_inexact 0
		.amdhsa_exception_int_div_zero 0
	.end_amdhsa_kernel
	.section	.text._ZN9rocsparseL20kernel_calculate_cooILi1024ELi64ELb0EdiiEEvT4_T3_PKS1_S4_PKT2_21rocsparse_index_base_PKS2_SA_S4_SA_SA_S4_SA_PS5_PNS_15floating_traitsIS5_E6data_tEPKSE_,"axG",@progbits,_ZN9rocsparseL20kernel_calculate_cooILi1024ELi64ELb0EdiiEEvT4_T3_PKS1_S4_PKT2_21rocsparse_index_base_PKS2_SA_S4_SA_SA_S4_SA_PS5_PNS_15floating_traitsIS5_E6data_tEPKSE_,comdat
.Lfunc_end35:
	.size	_ZN9rocsparseL20kernel_calculate_cooILi1024ELi64ELb0EdiiEEvT4_T3_PKS1_S4_PKT2_21rocsparse_index_base_PKS2_SA_S4_SA_SA_S4_SA_PS5_PNS_15floating_traitsIS5_E6data_tEPKSE_, .Lfunc_end35-_ZN9rocsparseL20kernel_calculate_cooILi1024ELi64ELb0EdiiEEvT4_T3_PKS1_S4_PKT2_21rocsparse_index_base_PKS2_SA_S4_SA_SA_S4_SA_PS5_PNS_15floating_traitsIS5_E6data_tEPKSE_
                                        ; -- End function
	.section	.AMDGPU.csdata,"",@progbits
; Kernel info:
; codeLenInByte = 988
; NumSgprs: 31
; NumVgprs: 23
; ScratchSize: 0
; MemoryBound: 1
; FloatMode: 240
; IeeeMode: 1
; LDSByteSize: 0 bytes/workgroup (compile time only)
; SGPRBlocks: 3
; VGPRBlocks: 2
; NumSGPRsForWavesPerEU: 31
; NumVGPRsForWavesPerEU: 23
; Occupancy: 16
; WaveLimiterHint : 1
; COMPUTE_PGM_RSRC2:SCRATCH_EN: 0
; COMPUTE_PGM_RSRC2:USER_SGPR: 15
; COMPUTE_PGM_RSRC2:TRAP_HANDLER: 0
; COMPUTE_PGM_RSRC2:TGID_X_EN: 1
; COMPUTE_PGM_RSRC2:TGID_Y_EN: 0
; COMPUTE_PGM_RSRC2:TGID_Z_EN: 0
; COMPUTE_PGM_RSRC2:TIDIG_COMP_CNT: 0
	.section	.text._ZN9rocsparseL20kernel_calculate_cooILi1024ELi32ELb1E21rocsparse_complex_numIfEiiEEvT4_T3_PKS3_S6_PKT2_21rocsparse_index_base_PKS4_SC_S6_SC_SC_S6_SC_PS7_PNS_15floating_traitsIS7_E6data_tEPKSG_,"axG",@progbits,_ZN9rocsparseL20kernel_calculate_cooILi1024ELi32ELb1E21rocsparse_complex_numIfEiiEEvT4_T3_PKS3_S6_PKT2_21rocsparse_index_base_PKS4_SC_S6_SC_SC_S6_SC_PS7_PNS_15floating_traitsIS7_E6data_tEPKSG_,comdat
	.globl	_ZN9rocsparseL20kernel_calculate_cooILi1024ELi32ELb1E21rocsparse_complex_numIfEiiEEvT4_T3_PKS3_S6_PKT2_21rocsparse_index_base_PKS4_SC_S6_SC_SC_S6_SC_PS7_PNS_15floating_traitsIS7_E6data_tEPKSG_ ; -- Begin function _ZN9rocsparseL20kernel_calculate_cooILi1024ELi32ELb1E21rocsparse_complex_numIfEiiEEvT4_T3_PKS3_S6_PKT2_21rocsparse_index_base_PKS4_SC_S6_SC_SC_S6_SC_PS7_PNS_15floating_traitsIS7_E6data_tEPKSG_
	.p2align	8
	.type	_ZN9rocsparseL20kernel_calculate_cooILi1024ELi32ELb1E21rocsparse_complex_numIfEiiEEvT4_T3_PKS3_S6_PKT2_21rocsparse_index_base_PKS4_SC_S6_SC_SC_S6_SC_PS7_PNS_15floating_traitsIS7_E6data_tEPKSG_,@function
_ZN9rocsparseL20kernel_calculate_cooILi1024ELi32ELb1E21rocsparse_complex_numIfEiiEEvT4_T3_PKS3_S6_PKT2_21rocsparse_index_base_PKS4_SC_S6_SC_SC_S6_SC_PS7_PNS_15floating_traitsIS7_E6data_tEPKSG_: ; @_ZN9rocsparseL20kernel_calculate_cooILi1024ELi32ELb1E21rocsparse_complex_numIfEiiEEvT4_T3_PKS3_S6_PKT2_21rocsparse_index_base_PKS4_SC_S6_SC_SC_S6_SC_PS7_PNS_15floating_traitsIS7_E6data_tEPKSG_
; %bb.0:
	s_load_b32 s3, s[0:1], 0x4
	v_lshl_or_b32 v1, s15, 16, v0
	v_mov_b32_e32 v16, 0
	s_mov_b32 s26, exec_lo
	s_waitcnt lgkmcnt(0)
	s_delay_alu instid0(VALU_DEP_2)
	v_cmpx_gt_i32_e64 s3, v1
	s_cbranch_execz .LBB36_43
; %bb.1:
	s_clause 0x4
	s_load_b256 s[4:11], s[0:1], 0x48
	s_load_b128 s[20:23], s[0:1], 0x8
	s_load_b64 s[24:25], s[0:1], 0x18
	s_load_b256 s[12:19], s[0:1], 0x28
	s_load_b32 s27, s[0:1], 0x20
	v_mov_b32_e32 v16, 0
	s_mov_b32 s28, 0
	s_branch .LBB36_4
.LBB36_2:                               ;   in Loop: Header=BB36_4 Depth=1
	s_or_b32 exec_lo, exec_lo, s31
	s_or_b32 vcc_lo, s30, vcc_lo
	v_cndmask_b32_e32 v16, v6, v16, vcc_lo
.LBB36_3:                               ;   in Loop: Header=BB36_4 Depth=1
	s_or_b32 exec_lo, exec_lo, s29
	v_add_nc_u32_e32 v1, 0x400, v1
	s_add_i32 s28, s28, 1
	s_delay_alu instid0(SALU_CYCLE_1)
	s_cmp_lg_u32 s28, 64
	s_cbranch_scc0 .LBB36_43
.LBB36_4:                               ; =>This Loop Header: Depth=1
                                        ;     Child Loop BB36_8 Depth 2
                                        ;     Child Loop BB36_16 Depth 2
	;; [unrolled: 1-line block ×3, first 2 shown]
	s_mov_b32 s29, exec_lo
	v_cmpx_gt_i32_e64 s3, v1
	s_cbranch_execz .LBB36_3
; %bb.5:                                ;   in Loop: Header=BB36_4 Depth=1
	v_ashrrev_i32_e32 v2, 31, v1
	s_delay_alu instid0(VALU_DEP_1) | instskip(SKIP_1) | instid1(VALU_DEP_1)
	v_lshlrev_b64 v[3:4], 2, v[1:2]
	s_waitcnt lgkmcnt(0)
	v_add_co_u32 v5, vcc_lo, s22, v3
	s_delay_alu instid0(VALU_DEP_2)
	v_add_co_ci_u32_e32 v6, vcc_lo, s23, v4, vcc_lo
	v_add_co_u32 v3, vcc_lo, s20, v3
	v_add_co_ci_u32_e32 v4, vcc_lo, s21, v4, vcc_lo
	global_load_b32 v17, v[5:6], off
	global_load_b32 v18, v[3:4], off
	s_waitcnt vmcnt(1)
	v_subrev_nc_u32_e32 v3, s27, v17
	s_delay_alu instid0(VALU_DEP_1) | instskip(NEXT) | instid1(VALU_DEP_1)
	v_ashrrev_i32_e32 v4, 31, v3
	v_lshlrev_b64 v[4:5], 2, v[3:4]
	v_lshlrev_b64 v[2:3], 3, v[1:2]
	s_delay_alu instid0(VALU_DEP_2) | instskip(NEXT) | instid1(VALU_DEP_3)
	v_add_co_u32 v6, vcc_lo, s14, v4
	v_add_co_ci_u32_e32 v7, vcc_lo, s15, v5, vcc_lo
	global_load_b32 v10, v[6:7], off
	s_waitcnt vmcnt(1)
	v_subrev_nc_u32_e32 v6, s27, v18
	s_delay_alu instid0(VALU_DEP_1) | instskip(NEXT) | instid1(VALU_DEP_1)
	v_ashrrev_i32_e32 v7, 31, v6
	v_lshlrev_b64 v[6:7], 2, v[6:7]
	s_delay_alu instid0(VALU_DEP_1) | instskip(NEXT) | instid1(VALU_DEP_2)
	v_add_co_u32 v8, vcc_lo, s14, v6
	v_add_co_ci_u32_e32 v9, vcc_lo, s15, v7, vcc_lo
	global_load_b32 v14, v[8:9], off
	v_add_co_u32 v8, vcc_lo, s4, v4
	v_add_co_ci_u32_e32 v9, vcc_lo, s5, v5, vcc_lo
	v_add_co_u32 v6, vcc_lo, s12, v6
	v_add_co_ci_u32_e32 v7, vcc_lo, s13, v7, vcc_lo
	v_add_co_u32 v4, vcc_lo, s18, v4
	global_load_b32 v15, v[8:9], off
	v_add_co_ci_u32_e32 v5, vcc_lo, s19, v5, vcc_lo
	global_load_b32 v20, v[6:7], off
	global_load_b32 v21, v[4:5], off
	s_waitcnt vmcnt(4)
	v_subrev_nc_u32_e32 v10, s27, v10
	s_delay_alu instid0(VALU_DEP_1) | instskip(NEXT) | instid1(VALU_DEP_1)
	v_ashrrev_i32_e32 v11, 31, v10
	v_lshlrev_b64 v[8:9], 3, v[10:11]
	v_add_co_u32 v10, vcc_lo, s24, v2
	v_add_co_ci_u32_e32 v11, vcc_lo, s25, v3, vcc_lo
	s_delay_alu instid0(VALU_DEP_3) | instskip(NEXT) | instid1(VALU_DEP_4)
	v_add_co_u32 v4, vcc_lo, s10, v8
	v_add_co_ci_u32_e32 v5, vcc_lo, s11, v9, vcc_lo
	global_load_b64 v[12:13], v[10:11], off
	global_load_b64 v[6:7], v[4:5], off
	s_waitcnt vmcnt(5)
	v_subrev_nc_u32_e32 v19, s27, v14
	s_waitcnt vmcnt(4)
	v_subrev_nc_u32_e32 v22, s27, v15
	s_waitcnt vmcnt(3)
	v_cmp_lt_i32_e32 vcc_lo, v20, v14
	s_waitcnt vmcnt(2)
	v_cmp_lt_i32_e64 s2, v21, v15
	v_subrev_nc_u32_e32 v8, s27, v20
	v_subrev_nc_u32_e32 v10, s27, v21
	v_dual_mov_b32 v14, 0 :: v_dual_mov_b32 v15, 0
	s_delay_alu instid0(VALU_DEP_4) | instskip(NEXT) | instid1(SALU_CYCLE_1)
	s_and_b32 s2, vcc_lo, s2
	s_and_saveexec_b32 s30, s2
	s_cbranch_execz .LBB36_11
; %bb.6:                                ;   in Loop: Header=BB36_4 Depth=1
	v_dual_mov_b32 v14, 0 :: v_dual_mov_b32 v15, 0
	s_mov_b32 s31, 0
	s_branch .LBB36_8
.LBB36_7:                               ;   in Loop: Header=BB36_8 Depth=2
	s_or_b32 exec_lo, exec_lo, s2
	v_cmp_le_i32_e32 vcc_lo, v11, v20
	v_add_co_ci_u32_e32 v8, vcc_lo, 0, v8, vcc_lo
	v_cmp_ge_i32_e32 vcc_lo, v11, v20
	v_add_co_ci_u32_e32 v10, vcc_lo, 0, v10, vcc_lo
	s_delay_alu instid0(VALU_DEP_3) | instskip(NEXT) | instid1(VALU_DEP_2)
	v_cmp_ge_i32_e32 vcc_lo, v8, v19
	v_cmp_ge_i32_e64 s2, v10, v22
	s_delay_alu instid0(VALU_DEP_1) | instskip(NEXT) | instid1(SALU_CYCLE_1)
	s_or_b32 s2, vcc_lo, s2
	s_and_b32 s2, exec_lo, s2
	s_delay_alu instid0(SALU_CYCLE_1) | instskip(NEXT) | instid1(SALU_CYCLE_1)
	s_or_b32 s31, s2, s31
	s_and_not1_b32 exec_lo, exec_lo, s31
	s_cbranch_execz .LBB36_10
.LBB36_8:                               ;   Parent Loop BB36_4 Depth=1
                                        ; =>  This Inner Loop Header: Depth=2
	v_ashrrev_i32_e32 v9, 31, v8
	v_ashrrev_i32_e32 v11, 31, v10
	s_mov_b32 s2, exec_lo
	s_delay_alu instid0(VALU_DEP_2) | instskip(NEXT) | instid1(VALU_DEP_2)
	v_lshlrev_b64 v[20:21], 2, v[8:9]
	v_lshlrev_b64 v[4:5], 2, v[10:11]
	s_delay_alu instid0(VALU_DEP_2) | instskip(NEXT) | instid1(VALU_DEP_3)
	v_add_co_u32 v20, vcc_lo, s16, v20
	v_add_co_ci_u32_e32 v21, vcc_lo, s17, v21, vcc_lo
	s_delay_alu instid0(VALU_DEP_3) | instskip(NEXT) | instid1(VALU_DEP_4)
	v_add_co_u32 v23, vcc_lo, s6, v4
	v_add_co_ci_u32_e32 v24, vcc_lo, s7, v5, vcc_lo
	global_load_b32 v11, v[20:21], off
	global_load_b32 v20, v[23:24], off
	s_waitcnt vmcnt(0)
	v_cmpx_eq_u32_e64 v11, v20
	s_cbranch_execz .LBB36_7
; %bb.9:                                ;   in Loop: Header=BB36_8 Depth=2
	v_add_co_u32 v4, vcc_lo, s8, v4
	v_add_co_ci_u32_e32 v5, vcc_lo, s9, v5, vcc_lo
	v_lshlrev_b64 v[23:24], 3, v[8:9]
	global_load_b32 v4, v[4:5], off
	v_add_co_u32 v23, vcc_lo, s10, v23
	v_add_co_ci_u32_e32 v24, vcc_lo, s11, v24, vcc_lo
	s_waitcnt vmcnt(0)
	v_ashrrev_i32_e32 v5, 31, v4
	s_delay_alu instid0(VALU_DEP_1) | instskip(NEXT) | instid1(VALU_DEP_1)
	v_lshlrev_b64 v[4:5], 3, v[4:5]
	v_add_co_u32 v4, vcc_lo, s10, v4
	s_delay_alu instid0(VALU_DEP_2)
	v_add_co_ci_u32_e32 v5, vcc_lo, s11, v5, vcc_lo
	s_clause 0x1
	global_load_b64 v[23:24], v[23:24], off
	global_load_b64 v[4:5], v[4:5], off
	s_waitcnt vmcnt(0)
	v_fmac_f32_e32 v14, v23, v4
	v_fmac_f32_e32 v15, v24, v4
	s_delay_alu instid0(VALU_DEP_2) | instskip(NEXT) | instid1(VALU_DEP_2)
	v_fma_f32 v14, -v24, v5, v14
	v_fmac_f32_e32 v15, v23, v5
	s_branch .LBB36_7
.LBB36_10:                              ;   in Loop: Header=BB36_4 Depth=1
	s_or_b32 exec_lo, exec_lo, s31
.LBB36_11:                              ;   in Loop: Header=BB36_4 Depth=1
	s_delay_alu instid0(SALU_CYCLE_1)
	s_or_b32 exec_lo, exec_lo, s30
	s_waitcnt vmcnt(1)
	v_dual_sub_f32 v4, v12, v14 :: v_dual_sub_f32 v5, v13, v15
	s_mov_b32 s2, exec_lo
	v_cmpx_gt_i32_e64 v18, v17
	s_cbranch_execz .LBB36_13
; %bb.12:                               ;   in Loop: Header=BB36_4 Depth=1
	s_waitcnt vmcnt(0)
	v_mul_f32_e32 v9, v7, v7
	s_delay_alu instid0(VALU_DEP_1) | instskip(NEXT) | instid1(VALU_DEP_1)
	v_fmac_f32_e32 v9, v6, v6
	v_div_scale_f32 v11, null, v9, v9, 1.0
	v_div_scale_f32 v23, vcc_lo, 1.0, v9, 1.0
	s_delay_alu instid0(VALU_DEP_2) | instskip(SKIP_2) | instid1(VALU_DEP_1)
	v_rcp_f32_e32 v20, v11
	s_waitcnt_depctr 0xfff
	v_fma_f32 v21, -v11, v20, 1.0
	v_fmac_f32_e32 v20, v21, v20
	s_delay_alu instid0(VALU_DEP_1) | instskip(NEXT) | instid1(VALU_DEP_1)
	v_mul_f32_e32 v21, v23, v20
	v_fma_f32 v24, -v11, v21, v23
	s_delay_alu instid0(VALU_DEP_1) | instskip(NEXT) | instid1(VALU_DEP_1)
	v_fmac_f32_e32 v21, v24, v20
	v_fma_f32 v11, -v11, v21, v23
	s_delay_alu instid0(VALU_DEP_1) | instskip(SKIP_2) | instid1(VALU_DEP_3)
	v_div_fmas_f32 v11, v11, v20, v21
	v_mul_f32_e32 v20, v7, v5
	v_mul_f32_e64 v21, v7, -v4
	v_div_fixup_f32 v9, v11, v9, 1.0
	s_delay_alu instid0(VALU_DEP_3) | instskip(NEXT) | instid1(VALU_DEP_3)
	v_fmac_f32_e32 v20, v4, v6
	v_fmac_f32_e32 v21, v5, v6
	s_delay_alu instid0(VALU_DEP_2) | instskip(NEXT) | instid1(VALU_DEP_2)
	v_mul_f32_e32 v4, v9, v20
	v_mul_f32_e32 v5, v9, v21
.LBB36_13:                              ;   in Loop: Header=BB36_4 Depth=1
	s_or_b32 exec_lo, exec_lo, s2
	v_dual_sub_f32 v20, v14, v12 :: v_dual_sub_f32 v21, v15, v13
	s_mov_b32 s30, exec_lo
	v_cmpx_lt_i32_e64 v10, v22
	s_cbranch_execz .LBB36_21
; %bb.14:                               ;   in Loop: Header=BB36_4 Depth=1
	v_ashrrev_i32_e32 v11, 31, v10
	s_mov_b32 s33, 0
                                        ; implicit-def: $sgpr31
                                        ; implicit-def: $sgpr35
                                        ; implicit-def: $sgpr34
	s_delay_alu instid0(VALU_DEP_1) | instskip(NEXT) | instid1(VALU_DEP_1)
	v_lshlrev_b64 v[12:13], 2, v[10:11]
	v_add_co_u32 v12, vcc_lo, s6, v12
	s_delay_alu instid0(VALU_DEP_2)
	v_add_co_ci_u32_e32 v13, vcc_lo, s7, v13, vcc_lo
	s_set_inst_prefetch_distance 0x1
	s_branch .LBB36_16
	.p2align	6
.LBB36_15:                              ;   in Loop: Header=BB36_16 Depth=2
	s_or_b32 exec_lo, exec_lo, s36
	s_delay_alu instid0(SALU_CYCLE_1) | instskip(NEXT) | instid1(SALU_CYCLE_1)
	s_and_b32 s2, exec_lo, s35
	s_or_b32 s33, s2, s33
	s_and_not1_b32 s2, s31, exec_lo
	s_and_b32 s31, s34, exec_lo
	s_delay_alu instid0(SALU_CYCLE_1)
	s_or_b32 s31, s2, s31
	s_and_not1_b32 exec_lo, exec_lo, s33
	s_cbranch_execz .LBB36_18
.LBB36_16:                              ;   Parent Loop BB36_4 Depth=1
                                        ; =>  This Inner Loop Header: Depth=2
	global_load_b32 v9, v[12:13], off
	v_dual_mov_b32 v15, v11 :: v_dual_mov_b32 v14, v10
	s_or_b32 s34, s34, exec_lo
	s_or_b32 s35, s35, exec_lo
	s_mov_b32 s36, exec_lo
                                        ; implicit-def: $vgpr10_vgpr11
	s_waitcnt vmcnt(0)
	v_cmpx_ne_u32_e64 v9, v18
	s_cbranch_execz .LBB36_15
; %bb.17:                               ;   in Loop: Header=BB36_16 Depth=2
	v_add_co_u32 v10, vcc_lo, v14, 1
	v_add_co_ci_u32_e32 v11, vcc_lo, 0, v15, vcc_lo
	v_add_co_u32 v12, s2, v12, 4
	s_delay_alu instid0(VALU_DEP_3) | instskip(SKIP_4) | instid1(SALU_CYCLE_1)
	v_cmp_ge_i32_e32 vcc_lo, v10, v22
	v_add_co_ci_u32_e64 v13, s2, 0, v13, s2
	s_and_not1_b32 s2, s35, exec_lo
	s_and_not1_b32 s34, s34, exec_lo
	s_and_b32 s35, vcc_lo, exec_lo
	s_or_b32 s35, s2, s35
	s_branch .LBB36_15
.LBB36_18:                              ;   in Loop: Header=BB36_4 Depth=1
	s_set_inst_prefetch_distance 0x2
	s_or_b32 exec_lo, exec_lo, s33
	s_and_saveexec_b32 s2, s31
	s_delay_alu instid0(SALU_CYCLE_1)
	s_xor_b32 s2, exec_lo, s2
	s_cbranch_execz .LBB36_20
; %bb.19:                               ;   in Loop: Header=BB36_4 Depth=1
	v_lshlrev_b64 v[9:10], 2, v[14:15]
	s_delay_alu instid0(VALU_DEP_1) | instskip(NEXT) | instid1(VALU_DEP_2)
	v_add_co_u32 v9, vcc_lo, s8, v9
	v_add_co_ci_u32_e32 v10, vcc_lo, s9, v10, vcc_lo
	global_load_b32 v9, v[9:10], off
	s_waitcnt vmcnt(0)
	v_ashrrev_i32_e32 v10, 31, v9
	s_delay_alu instid0(VALU_DEP_1) | instskip(NEXT) | instid1(VALU_DEP_1)
	v_lshlrev_b64 v[9:10], 3, v[9:10]
	v_add_co_u32 v9, vcc_lo, s10, v9
	s_delay_alu instid0(VALU_DEP_2)
	v_add_co_ci_u32_e32 v10, vcc_lo, s11, v10, vcc_lo
	global_load_b64 v[9:10], v[9:10], off
	s_waitcnt vmcnt(0)
	v_dual_add_f32 v20, v20, v9 :: v_dual_add_f32 v21, v21, v10
.LBB36_20:                              ;   in Loop: Header=BB36_4 Depth=1
	s_or_b32 exec_lo, exec_lo, s2
.LBB36_21:                              ;   in Loop: Header=BB36_4 Depth=1
	s_delay_alu instid0(SALU_CYCLE_1) | instskip(NEXT) | instid1(SALU_CYCLE_1)
	s_or_b32 exec_lo, exec_lo, s30
	s_mov_b32 s30, exec_lo
	v_cmpx_lt_i32_e64 v8, v19
	s_cbranch_execz .LBB36_29
; %bb.22:                               ;   in Loop: Header=BB36_4 Depth=1
	v_ashrrev_i32_e32 v9, 31, v8
	s_mov_b32 s33, 0
                                        ; implicit-def: $sgpr31
                                        ; implicit-def: $sgpr35
                                        ; implicit-def: $sgpr34
	s_delay_alu instid0(VALU_DEP_1) | instskip(NEXT) | instid1(VALU_DEP_1)
	v_lshlrev_b64 v[10:11], 2, v[8:9]
	v_add_co_u32 v10, vcc_lo, s16, v10
	s_delay_alu instid0(VALU_DEP_2)
	v_add_co_ci_u32_e32 v11, vcc_lo, s17, v11, vcc_lo
	s_set_inst_prefetch_distance 0x1
	s_branch .LBB36_24
	.p2align	6
.LBB36_23:                              ;   in Loop: Header=BB36_24 Depth=2
	s_or_b32 exec_lo, exec_lo, s36
	s_delay_alu instid0(SALU_CYCLE_1) | instskip(NEXT) | instid1(SALU_CYCLE_1)
	s_and_b32 s2, exec_lo, s35
	s_or_b32 s33, s2, s33
	s_and_not1_b32 s2, s31, exec_lo
	s_and_b32 s31, s34, exec_lo
	s_delay_alu instid0(SALU_CYCLE_1)
	s_or_b32 s31, s2, s31
	s_and_not1_b32 exec_lo, exec_lo, s33
	s_cbranch_execz .LBB36_26
.LBB36_24:                              ;   Parent Loop BB36_4 Depth=1
                                        ; =>  This Inner Loop Header: Depth=2
	global_load_b32 v14, v[10:11], off
	v_dual_mov_b32 v13, v9 :: v_dual_mov_b32 v12, v8
	s_or_b32 s34, s34, exec_lo
	s_or_b32 s35, s35, exec_lo
	s_mov_b32 s36, exec_lo
                                        ; implicit-def: $vgpr8_vgpr9
	s_waitcnt vmcnt(0)
	v_cmpx_ne_u32_e64 v14, v17
	s_cbranch_execz .LBB36_23
; %bb.25:                               ;   in Loop: Header=BB36_24 Depth=2
	v_add_co_u32 v8, vcc_lo, v12, 1
	v_add_co_ci_u32_e32 v9, vcc_lo, 0, v13, vcc_lo
	v_add_co_u32 v10, s2, v10, 4
	s_delay_alu instid0(VALU_DEP_3) | instskip(SKIP_4) | instid1(SALU_CYCLE_1)
	v_cmp_ge_i32_e32 vcc_lo, v8, v19
	v_add_co_ci_u32_e64 v11, s2, 0, v11, s2
	s_and_not1_b32 s2, s35, exec_lo
	s_and_not1_b32 s34, s34, exec_lo
	s_and_b32 s35, vcc_lo, exec_lo
	s_or_b32 s35, s2, s35
	s_branch .LBB36_23
.LBB36_26:                              ;   in Loop: Header=BB36_4 Depth=1
	s_set_inst_prefetch_distance 0x2
	s_or_b32 exec_lo, exec_lo, s33
	s_and_saveexec_b32 s2, s31
	s_delay_alu instid0(SALU_CYCLE_1)
	s_xor_b32 s2, exec_lo, s2
	s_cbranch_execz .LBB36_28
; %bb.27:                               ;   in Loop: Header=BB36_4 Depth=1
	v_lshlrev_b64 v[8:9], 3, v[12:13]
	s_delay_alu instid0(VALU_DEP_1) | instskip(NEXT) | instid1(VALU_DEP_2)
	v_add_co_u32 v8, vcc_lo, s10, v8
	v_add_co_ci_u32_e32 v9, vcc_lo, s11, v9, vcc_lo
	global_load_b64 v[8:9], v[8:9], off
	s_waitcnt vmcnt(0)
	v_fmac_f32_e32 v20, v8, v6
	v_fmac_f32_e32 v21, v9, v6
	s_delay_alu instid0(VALU_DEP_2) | instskip(NEXT) | instid1(VALU_DEP_2)
	v_fma_f32 v20, -v9, v7, v20
	v_fmac_f32_e32 v21, v8, v7
.LBB36_28:                              ;   in Loop: Header=BB36_4 Depth=1
	s_or_b32 exec_lo, exec_lo, s2
.LBB36_29:                              ;   in Loop: Header=BB36_4 Depth=1
	s_delay_alu instid0(SALU_CYCLE_1) | instskip(SKIP_1) | instid1(VALU_DEP_1)
	s_or_b32 exec_lo, exec_lo, s30
	s_waitcnt vmcnt(0)
	v_dual_add_f32 v6, v6, v20 :: v_dual_add_f32 v7, v7, v21
	v_cmp_eq_u32_e32 vcc_lo, v18, v17
	s_mov_b32 s2, exec_lo
	s_delay_alu instid0(VALU_DEP_2) | instskip(NEXT) | instid1(VALU_DEP_1)
	v_dual_cndmask_b32 v9, v21, v7 :: v_dual_cndmask_b32 v6, v20, v6
	v_cmp_gt_f32_e32 vcc_lo, 0, v6
	v_cndmask_b32_e64 v7, v6, -v6, vcc_lo
	s_delay_alu instid0(VALU_DEP_3) | instskip(SKIP_1) | instid1(VALU_DEP_1)
	v_cmp_gt_f32_e32 vcc_lo, 0, v9
                                        ; implicit-def: $vgpr6
	v_cndmask_b32_e64 v8, v9, -v9, vcc_lo
	v_cmpx_ngt_f32_e32 v7, v8
	s_xor_b32 s30, exec_lo, s2
	s_cbranch_execz .LBB36_33
; %bb.30:                               ;   in Loop: Header=BB36_4 Depth=1
	v_mov_b32_e32 v6, 0
	s_mov_b32 s31, exec_lo
	v_cmpx_neq_f32_e32 0, v9
	s_cbranch_execz .LBB36_32
; %bb.31:                               ;   in Loop: Header=BB36_4 Depth=1
	v_div_scale_f32 v6, null, v8, v8, v7
	v_div_scale_f32 v11, vcc_lo, v7, v8, v7
	s_delay_alu instid0(VALU_DEP_2) | instskip(SKIP_2) | instid1(VALU_DEP_1)
	v_rcp_f32_e32 v9, v6
	s_waitcnt_depctr 0xfff
	v_fma_f32 v10, -v6, v9, 1.0
	v_fmac_f32_e32 v9, v10, v9
	s_delay_alu instid0(VALU_DEP_1) | instskip(NEXT) | instid1(VALU_DEP_1)
	v_mul_f32_e32 v10, v11, v9
	v_fma_f32 v12, -v6, v10, v11
	s_delay_alu instid0(VALU_DEP_1) | instskip(NEXT) | instid1(VALU_DEP_1)
	v_fmac_f32_e32 v10, v12, v9
	v_fma_f32 v6, -v6, v10, v11
	s_delay_alu instid0(VALU_DEP_1) | instskip(NEXT) | instid1(VALU_DEP_1)
	v_div_fmas_f32 v6, v6, v9, v10
	v_div_fixup_f32 v6, v6, v8, v7
	s_delay_alu instid0(VALU_DEP_1) | instskip(NEXT) | instid1(VALU_DEP_1)
	v_fma_f32 v6, v6, v6, 1.0
	v_mul_f32_e32 v7, 0x4f800000, v6
	v_cmp_gt_f32_e32 vcc_lo, 0xf800000, v6
	s_delay_alu instid0(VALU_DEP_2) | instskip(NEXT) | instid1(VALU_DEP_1)
	v_cndmask_b32_e32 v6, v6, v7, vcc_lo
	v_sqrt_f32_e32 v7, v6
	s_waitcnt_depctr 0xfff
	v_add_nc_u32_e32 v9, -1, v7
	v_add_nc_u32_e32 v10, 1, v7
	s_delay_alu instid0(VALU_DEP_2) | instskip(NEXT) | instid1(VALU_DEP_2)
	v_fma_f32 v11, -v9, v7, v6
	v_fma_f32 v12, -v10, v7, v6
	s_delay_alu instid0(VALU_DEP_2) | instskip(NEXT) | instid1(VALU_DEP_1)
	v_cmp_ge_f32_e64 s2, 0, v11
	v_cndmask_b32_e64 v7, v7, v9, s2
	s_delay_alu instid0(VALU_DEP_3) | instskip(NEXT) | instid1(VALU_DEP_1)
	v_cmp_lt_f32_e64 s2, 0, v12
	v_cndmask_b32_e64 v7, v7, v10, s2
	s_delay_alu instid0(VALU_DEP_1) | instskip(NEXT) | instid1(VALU_DEP_1)
	v_mul_f32_e32 v9, 0x37800000, v7
	v_cndmask_b32_e32 v7, v7, v9, vcc_lo
	v_cmp_class_f32_e64 vcc_lo, v6, 0x260
	s_delay_alu instid0(VALU_DEP_2) | instskip(NEXT) | instid1(VALU_DEP_1)
	v_cndmask_b32_e32 v6, v7, v6, vcc_lo
	v_mul_f32_e32 v6, v8, v6
.LBB36_32:                              ;   in Loop: Header=BB36_4 Depth=1
	s_or_b32 exec_lo, exec_lo, s31
                                        ; implicit-def: $vgpr7
                                        ; implicit-def: $vgpr8
.LBB36_33:                              ;   in Loop: Header=BB36_4 Depth=1
	s_and_not1_saveexec_b32 s30, s30
	s_cbranch_execz .LBB36_35
; %bb.34:                               ;   in Loop: Header=BB36_4 Depth=1
	v_div_scale_f32 v6, null, v7, v7, v8
	v_div_scale_f32 v11, vcc_lo, v8, v7, v8
	s_delay_alu instid0(VALU_DEP_2) | instskip(SKIP_2) | instid1(VALU_DEP_1)
	v_rcp_f32_e32 v9, v6
	s_waitcnt_depctr 0xfff
	v_fma_f32 v10, -v6, v9, 1.0
	v_fmac_f32_e32 v9, v10, v9
	s_delay_alu instid0(VALU_DEP_1) | instskip(NEXT) | instid1(VALU_DEP_1)
	v_mul_f32_e32 v10, v11, v9
	v_fma_f32 v12, -v6, v10, v11
	s_delay_alu instid0(VALU_DEP_1) | instskip(NEXT) | instid1(VALU_DEP_1)
	v_fmac_f32_e32 v10, v12, v9
	v_fma_f32 v6, -v6, v10, v11
	s_delay_alu instid0(VALU_DEP_1) | instskip(NEXT) | instid1(VALU_DEP_1)
	v_div_fmas_f32 v6, v6, v9, v10
	v_div_fixup_f32 v6, v6, v7, v8
	s_delay_alu instid0(VALU_DEP_1) | instskip(NEXT) | instid1(VALU_DEP_1)
	v_fma_f32 v6, v6, v6, 1.0
	v_mul_f32_e32 v8, 0x4f800000, v6
	v_cmp_gt_f32_e32 vcc_lo, 0xf800000, v6
	s_delay_alu instid0(VALU_DEP_2) | instskip(NEXT) | instid1(VALU_DEP_1)
	v_cndmask_b32_e32 v6, v6, v8, vcc_lo
	v_sqrt_f32_e32 v8, v6
	s_waitcnt_depctr 0xfff
	v_add_nc_u32_e32 v9, -1, v8
	v_add_nc_u32_e32 v10, 1, v8
	s_delay_alu instid0(VALU_DEP_2) | instskip(NEXT) | instid1(VALU_DEP_2)
	v_fma_f32 v11, -v9, v8, v6
	v_fma_f32 v12, -v10, v8, v6
	s_delay_alu instid0(VALU_DEP_2) | instskip(NEXT) | instid1(VALU_DEP_1)
	v_cmp_ge_f32_e64 s2, 0, v11
	v_cndmask_b32_e64 v8, v8, v9, s2
	s_delay_alu instid0(VALU_DEP_3) | instskip(NEXT) | instid1(VALU_DEP_1)
	v_cmp_lt_f32_e64 s2, 0, v12
	v_cndmask_b32_e64 v8, v8, v10, s2
	s_delay_alu instid0(VALU_DEP_1) | instskip(NEXT) | instid1(VALU_DEP_1)
	v_mul_f32_e32 v9, 0x37800000, v8
	v_cndmask_b32_e32 v8, v8, v9, vcc_lo
	v_cmp_class_f32_e64 vcc_lo, v6, 0x260
	s_delay_alu instid0(VALU_DEP_2) | instskip(NEXT) | instid1(VALU_DEP_1)
	v_cndmask_b32_e32 v6, v8, v6, vcc_lo
	v_mul_f32_e32 v6, v7, v6
.LBB36_35:                              ;   in Loop: Header=BB36_4 Depth=1
	s_or_b32 exec_lo, exec_lo, s30
	v_cmp_gt_f32_e32 vcc_lo, 0, v4
                                        ; implicit-def: $vgpr9
	s_mov_b32 s2, exec_lo
	v_cndmask_b32_e64 v7, v4, -v4, vcc_lo
	v_cmp_gt_f32_e32 vcc_lo, 0, v5
	v_cndmask_b32_e64 v8, v5, -v5, vcc_lo
	s_delay_alu instid0(VALU_DEP_1)
	v_cmpx_ngt_f32_e32 v7, v8
	s_xor_b32 s30, exec_lo, s2
	s_cbranch_execz .LBB36_39
; %bb.36:                               ;   in Loop: Header=BB36_4 Depth=1
	v_mov_b32_e32 v9, 0
	s_mov_b32 s31, exec_lo
	v_cmpx_neq_f32_e32 0, v5
	s_cbranch_execz .LBB36_38
; %bb.37:                               ;   in Loop: Header=BB36_4 Depth=1
	v_div_scale_f32 v9, null, v8, v8, v7
	v_div_scale_f32 v12, vcc_lo, v7, v8, v7
	s_delay_alu instid0(VALU_DEP_2) | instskip(SKIP_2) | instid1(VALU_DEP_1)
	v_rcp_f32_e32 v10, v9
	s_waitcnt_depctr 0xfff
	v_fma_f32 v11, -v9, v10, 1.0
	v_fmac_f32_e32 v10, v11, v10
	s_delay_alu instid0(VALU_DEP_1) | instskip(NEXT) | instid1(VALU_DEP_1)
	v_mul_f32_e32 v11, v12, v10
	v_fma_f32 v13, -v9, v11, v12
	s_delay_alu instid0(VALU_DEP_1) | instskip(NEXT) | instid1(VALU_DEP_1)
	v_fmac_f32_e32 v11, v13, v10
	v_fma_f32 v9, -v9, v11, v12
	s_delay_alu instid0(VALU_DEP_1) | instskip(NEXT) | instid1(VALU_DEP_1)
	v_div_fmas_f32 v9, v9, v10, v11
	v_div_fixup_f32 v7, v9, v8, v7
	s_delay_alu instid0(VALU_DEP_1) | instskip(NEXT) | instid1(VALU_DEP_1)
	v_fma_f32 v7, v7, v7, 1.0
	v_mul_f32_e32 v9, 0x4f800000, v7
	v_cmp_gt_f32_e32 vcc_lo, 0xf800000, v7
	s_delay_alu instid0(VALU_DEP_2) | instskip(NEXT) | instid1(VALU_DEP_1)
	v_cndmask_b32_e32 v7, v7, v9, vcc_lo
	v_sqrt_f32_e32 v9, v7
	s_waitcnt_depctr 0xfff
	v_add_nc_u32_e32 v10, -1, v9
	v_add_nc_u32_e32 v11, 1, v9
	s_delay_alu instid0(VALU_DEP_2) | instskip(NEXT) | instid1(VALU_DEP_2)
	v_fma_f32 v12, -v10, v9, v7
	v_fma_f32 v13, -v11, v9, v7
	s_delay_alu instid0(VALU_DEP_2) | instskip(NEXT) | instid1(VALU_DEP_1)
	v_cmp_ge_f32_e64 s2, 0, v12
	v_cndmask_b32_e64 v9, v9, v10, s2
	s_delay_alu instid0(VALU_DEP_3) | instskip(NEXT) | instid1(VALU_DEP_1)
	v_cmp_lt_f32_e64 s2, 0, v13
	v_cndmask_b32_e64 v9, v9, v11, s2
	s_delay_alu instid0(VALU_DEP_1) | instskip(NEXT) | instid1(VALU_DEP_1)
	v_mul_f32_e32 v10, 0x37800000, v9
	v_cndmask_b32_e32 v9, v9, v10, vcc_lo
	v_cmp_class_f32_e64 vcc_lo, v7, 0x260
	s_delay_alu instid0(VALU_DEP_2) | instskip(NEXT) | instid1(VALU_DEP_1)
	v_cndmask_b32_e32 v7, v9, v7, vcc_lo
	v_mul_f32_e32 v9, v8, v7
.LBB36_38:                              ;   in Loop: Header=BB36_4 Depth=1
	s_or_b32 exec_lo, exec_lo, s31
                                        ; implicit-def: $vgpr7
                                        ; implicit-def: $vgpr8
.LBB36_39:                              ;   in Loop: Header=BB36_4 Depth=1
	s_and_not1_saveexec_b32 s30, s30
	s_cbranch_execz .LBB36_41
; %bb.40:                               ;   in Loop: Header=BB36_4 Depth=1
	v_div_scale_f32 v9, null, v7, v7, v8
	v_div_scale_f32 v12, vcc_lo, v8, v7, v8
	s_delay_alu instid0(VALU_DEP_2) | instskip(SKIP_2) | instid1(VALU_DEP_1)
	v_rcp_f32_e32 v10, v9
	s_waitcnt_depctr 0xfff
	v_fma_f32 v11, -v9, v10, 1.0
	v_fmac_f32_e32 v10, v11, v10
	s_delay_alu instid0(VALU_DEP_1) | instskip(NEXT) | instid1(VALU_DEP_1)
	v_mul_f32_e32 v11, v12, v10
	v_fma_f32 v13, -v9, v11, v12
	s_delay_alu instid0(VALU_DEP_1) | instskip(NEXT) | instid1(VALU_DEP_1)
	v_fmac_f32_e32 v11, v13, v10
	v_fma_f32 v9, -v9, v11, v12
	s_delay_alu instid0(VALU_DEP_1) | instskip(NEXT) | instid1(VALU_DEP_1)
	v_div_fmas_f32 v9, v9, v10, v11
	v_div_fixup_f32 v8, v9, v7, v8
	s_delay_alu instid0(VALU_DEP_1) | instskip(NEXT) | instid1(VALU_DEP_1)
	v_fma_f32 v8, v8, v8, 1.0
	v_mul_f32_e32 v9, 0x4f800000, v8
	v_cmp_gt_f32_e32 vcc_lo, 0xf800000, v8
	s_delay_alu instid0(VALU_DEP_2) | instskip(NEXT) | instid1(VALU_DEP_1)
	v_cndmask_b32_e32 v8, v8, v9, vcc_lo
	v_sqrt_f32_e32 v9, v8
	s_waitcnt_depctr 0xfff
	v_add_nc_u32_e32 v10, -1, v9
	v_add_nc_u32_e32 v11, 1, v9
	s_delay_alu instid0(VALU_DEP_2) | instskip(NEXT) | instid1(VALU_DEP_2)
	v_fma_f32 v12, -v10, v9, v8
	v_fma_f32 v13, -v11, v9, v8
	s_delay_alu instid0(VALU_DEP_2) | instskip(NEXT) | instid1(VALU_DEP_1)
	v_cmp_ge_f32_e64 s2, 0, v12
	v_cndmask_b32_e64 v9, v9, v10, s2
	s_delay_alu instid0(VALU_DEP_3) | instskip(NEXT) | instid1(VALU_DEP_1)
	v_cmp_lt_f32_e64 s2, 0, v13
	v_cndmask_b32_e64 v9, v9, v11, s2
	s_delay_alu instid0(VALU_DEP_1) | instskip(NEXT) | instid1(VALU_DEP_1)
	v_mul_f32_e32 v10, 0x37800000, v9
	v_cndmask_b32_e32 v9, v9, v10, vcc_lo
	v_cmp_class_f32_e64 vcc_lo, v8, 0x260
	s_delay_alu instid0(VALU_DEP_2) | instskip(NEXT) | instid1(VALU_DEP_1)
	v_cndmask_b32_e32 v8, v9, v8, vcc_lo
	v_mul_f32_e32 v9, v7, v8
.LBB36_41:                              ;   in Loop: Header=BB36_4 Depth=1
	s_or_b32 exec_lo, exec_lo, s30
	v_cmp_nlg_f32_e64 s30, 0x7f800000, |v6|
	v_cmp_gt_f32_e32 vcc_lo, v16, v6
	s_delay_alu instid0(VALU_DEP_3) | instskip(NEXT) | instid1(VALU_DEP_1)
	v_cmp_class_f32_e64 s2, v9, 0x1f8
	s_and_saveexec_b32 s31, s2
	s_cbranch_execz .LBB36_2
; %bb.42:                               ;   in Loop: Header=BB36_4 Depth=1
	v_add_co_u32 v2, s2, s10, v2
	s_delay_alu instid0(VALU_DEP_1)
	v_add_co_ci_u32_e64 v3, s2, s11, v3, s2
	global_store_b64 v[2:3], v[4:5], off
	s_branch .LBB36_2
.LBB36_43:
	s_or_b32 exec_lo, exec_lo, s26
	v_mbcnt_lo_u32_b32 v1, -1, 0
	s_mov_b32 s2, exec_lo
	s_delay_alu instid0(VALU_DEP_1) | instskip(SKIP_2) | instid1(VALU_DEP_3)
	v_xor_b32_e32 v2, 16, v1
	v_xor_b32_e32 v3, 8, v1
	;; [unrolled: 1-line block ×3, first 2 shown]
	v_cmp_gt_i32_e32 vcc_lo, 32, v2
	v_cndmask_b32_e32 v2, v1, v2, vcc_lo
	s_delay_alu instid0(VALU_DEP_4) | instskip(SKIP_1) | instid1(VALU_DEP_1)
	v_cmp_gt_i32_e32 vcc_lo, 32, v3
	v_cndmask_b32_e32 v3, v1, v3, vcc_lo
	v_lshlrev_b32_e32 v3, 2, v3
	s_delay_alu instid0(VALU_DEP_4)
	v_lshlrev_b32_e32 v2, 2, v2
	ds_bpermute_b32 v2, v2, v16
	s_waitcnt lgkmcnt(0)
	v_cmp_lt_f32_e32 vcc_lo, v16, v2
	v_cndmask_b32_e32 v2, v16, v2, vcc_lo
	v_cmp_gt_i32_e32 vcc_lo, 32, v4
	ds_bpermute_b32 v3, v3, v2
	v_cndmask_b32_e32 v4, v1, v4, vcc_lo
	s_delay_alu instid0(VALU_DEP_1)
	v_lshlrev_b32_e32 v4, 2, v4
	s_waitcnt lgkmcnt(0)
	v_cmp_lt_f32_e32 vcc_lo, v2, v3
	v_cndmask_b32_e32 v2, v2, v3, vcc_lo
	ds_bpermute_b32 v3, v4, v2
	v_xor_b32_e32 v4, 2, v1
	s_delay_alu instid0(VALU_DEP_1) | instskip(SKIP_1) | instid1(VALU_DEP_1)
	v_cmp_gt_i32_e32 vcc_lo, 32, v4
	v_cndmask_b32_e32 v4, v1, v4, vcc_lo
	v_lshlrev_b32_e32 v4, 2, v4
	s_waitcnt lgkmcnt(0)
	v_cmp_lt_f32_e32 vcc_lo, v2, v3
	v_cndmask_b32_e32 v2, v2, v3, vcc_lo
	ds_bpermute_b32 v3, v4, v2
	v_xor_b32_e32 v4, 1, v1
	s_delay_alu instid0(VALU_DEP_1)
	v_cmp_gt_i32_e32 vcc_lo, 32, v4
	v_cndmask_b32_e32 v4, v1, v4, vcc_lo
	s_waitcnt lgkmcnt(0)
	v_cmp_lt_f32_e32 vcc_lo, v2, v3
	v_cndmask_b32_e32 v1, v2, v3, vcc_lo
	v_and_b32_e32 v3, 31, v0
	v_lshlrev_b32_e32 v2, 2, v4
	ds_bpermute_b32 v2, v2, v1
	v_cmpx_eq_u32_e32 31, v3
	s_cbranch_execz .LBB36_45
; %bb.44:
	v_lshrrev_b32_e32 v3, 3, v0
	s_waitcnt lgkmcnt(0)
	v_cmp_lt_f32_e32 vcc_lo, v1, v2
	s_delay_alu instid0(VALU_DEP_2)
	v_and_b32_e32 v3, 0x7c, v3
	v_cndmask_b32_e32 v1, v1, v2, vcc_lo
	ds_store_b32 v3, v1
.LBB36_45:
	s_or_b32 exec_lo, exec_lo, s2
	v_lshlrev_b32_e32 v1, 2, v0
	s_mov_b32 s2, exec_lo
	s_waitcnt lgkmcnt(0)
	s_waitcnt_vscnt null, 0x0
	s_barrier
	buffer_gl0_inv
	v_cmpx_gt_u32_e32 16, v0
	s_cbranch_execz .LBB36_47
; %bb.46:
	ds_load_2addr_b32 v[2:3], v1 offset1:16
	s_waitcnt lgkmcnt(0)
	v_cmp_lt_f32_e32 vcc_lo, v2, v3
	v_cndmask_b32_e32 v2, v2, v3, vcc_lo
	ds_store_b32 v1, v2
.LBB36_47:
	s_or_b32 exec_lo, exec_lo, s2
	s_delay_alu instid0(SALU_CYCLE_1)
	s_mov_b32 s2, exec_lo
	s_waitcnt lgkmcnt(0)
	s_barrier
	buffer_gl0_inv
	v_cmpx_gt_u32_e32 8, v0
	s_cbranch_execz .LBB36_49
; %bb.48:
	ds_load_2addr_b32 v[2:3], v1 offset1:8
	s_waitcnt lgkmcnt(0)
	v_cmp_lt_f32_e32 vcc_lo, v2, v3
	v_cndmask_b32_e32 v2, v2, v3, vcc_lo
	ds_store_b32 v1, v2
.LBB36_49:
	s_or_b32 exec_lo, exec_lo, s2
	s_delay_alu instid0(SALU_CYCLE_1)
	s_mov_b32 s2, exec_lo
	s_waitcnt lgkmcnt(0)
	;; [unrolled: 15-line block ×3, first 2 shown]
	s_barrier
	buffer_gl0_inv
	v_cmpx_gt_u32_e32 2, v0
	s_cbranch_execz .LBB36_53
; %bb.52:
	ds_load_2addr_b32 v[2:3], v1 offset1:2
	s_waitcnt lgkmcnt(0)
	v_cmp_lt_f32_e32 vcc_lo, v2, v3
	v_cndmask_b32_e32 v2, v2, v3, vcc_lo
	ds_store_b32 v1, v2
.LBB36_53:
	s_or_b32 exec_lo, exec_lo, s2
	v_cmp_eq_u32_e32 vcc_lo, 0, v0
	s_waitcnt lgkmcnt(0)
	s_barrier
	buffer_gl0_inv
	s_and_saveexec_b32 s3, vcc_lo
	s_cbranch_execz .LBB36_55
; %bb.54:
	v_mov_b32_e32 v2, 0
	ds_load_b64 v[0:1], v2
	s_waitcnt lgkmcnt(0)
	v_cmp_lt_f32_e64 s2, v0, v1
	s_delay_alu instid0(VALU_DEP_1)
	v_cndmask_b32_e64 v0, v0, v1, s2
	ds_store_b32 v2, v0
.LBB36_55:
	s_or_b32 exec_lo, exec_lo, s3
	s_waitcnt lgkmcnt(0)
	s_barrier
	buffer_gl0_inv
	s_and_saveexec_b32 s2, vcc_lo
	s_cbranch_execz .LBB36_60
; %bb.56:
	s_load_b128 s[4:7], s[0:1], 0x68
	v_mov_b32_e32 v2, 0
	s_mov_b32 s1, 0
                                        ; implicit-def: $sgpr2
                                        ; implicit-def: $sgpr3
	ds_load_b32 v0, v2
	s_waitcnt lgkmcnt(0)
	s_load_b32 s0, s[6:7], 0x0
	s_waitcnt lgkmcnt(0)
	v_div_scale_f32 v3, null, s0, s0, v0
	v_div_scale_f32 v6, vcc_lo, v0, s0, v0
	s_delay_alu instid0(VALU_DEP_2) | instskip(SKIP_2) | instid1(VALU_DEP_1)
	v_rcp_f32_e32 v4, v3
	s_waitcnt_depctr 0xfff
	v_fma_f32 v5, -v3, v4, 1.0
	v_fmac_f32_e32 v4, v5, v4
	s_delay_alu instid0(VALU_DEP_1) | instskip(SKIP_2) | instid1(VALU_DEP_1)
	v_mul_f32_e32 v5, v6, v4
	global_load_b32 v1, v2, s[4:5] glc
	v_fma_f32 v7, -v3, v5, v6
	v_fmac_f32_e32 v5, v7, v4
	s_delay_alu instid0(VALU_DEP_1) | instskip(NEXT) | instid1(VALU_DEP_1)
	v_fma_f32 v3, -v3, v5, v6
	v_div_fmas_f32 v3, v3, v4, v5
	s_delay_alu instid0(VALU_DEP_1) | instskip(NEXT) | instid1(VALU_DEP_1)
	v_div_fixup_f32 v0, v3, s0, v0
	v_cmp_eq_f32_e32 vcc_lo, 0, v0
	s_waitcnt vmcnt(0)
	v_cmp_eq_u32_e64 s6, 0x80000000, v1
	s_set_inst_prefetch_distance 0x1
	s_branch .LBB36_58
	.p2align	6
.LBB36_57:                              ;   in Loop: Header=BB36_58 Depth=1
	s_or_b32 exec_lo, exec_lo, s7
	s_delay_alu instid0(SALU_CYCLE_1) | instskip(NEXT) | instid1(SALU_CYCLE_1)
	s_and_b32 s0, exec_lo, s2
	s_or_b32 s1, s0, s1
	s_and_not1_b32 s0, s6, exec_lo
	s_and_b32 s6, s3, exec_lo
	s_delay_alu instid0(SALU_CYCLE_1)
	s_or_b32 s6, s0, s6
	s_and_not1_b32 exec_lo, exec_lo, s1
	s_cbranch_execz .LBB36_60
.LBB36_58:                              ; =>This Inner Loop Header: Depth=1
	v_cmp_lt_f32_e64 s0, v1, v0
	s_delay_alu instid0(VALU_DEP_2) | instskip(SKIP_2) | instid1(VALU_DEP_1)
	s_and_b32 s7, vcc_lo, s6
	s_and_not1_b32 s3, s3, exec_lo
	s_or_b32 s2, s2, exec_lo
	s_or_b32 s0, s0, s7
	s_delay_alu instid0(SALU_CYCLE_1)
	s_and_saveexec_b32 s7, s0
	s_cbranch_execz .LBB36_57
; %bb.59:                               ;   in Loop: Header=BB36_58 Depth=1
	global_atomic_cmpswap_b32 v3, v2, v[0:1], s[4:5] glc
	s_and_not1_b32 s3, s3, exec_lo
	s_and_not1_b32 s2, s2, exec_lo
	s_waitcnt vmcnt(0)
	v_cmp_eq_u32_e64 s0, v3, v1
	s_delay_alu instid0(VALU_DEP_1) | instskip(SKIP_1) | instid1(SALU_CYCLE_1)
	v_cndmask_b32_e64 v1, v3, v1, s0
	s_and_b32 s0, s0, exec_lo
	s_or_b32 s2, s2, s0
	s_delay_alu instid0(VALU_DEP_1) | instskip(SKIP_1) | instid1(VALU_DEP_2)
	v_cmp_class_f32_e64 s6, v1, 32
	v_mov_b32_e32 v1, v3
	s_and_b32 s6, s6, exec_lo
	s_delay_alu instid0(SALU_CYCLE_1)
	s_or_b32 s3, s3, s6
                                        ; implicit-def: $sgpr6
	s_branch .LBB36_57
.LBB36_60:
	s_set_inst_prefetch_distance 0x2
	s_endpgm
	.section	.rodata,"a",@progbits
	.p2align	6, 0x0
	.amdhsa_kernel _ZN9rocsparseL20kernel_calculate_cooILi1024ELi32ELb1E21rocsparse_complex_numIfEiiEEvT4_T3_PKS3_S6_PKT2_21rocsparse_index_base_PKS4_SC_S6_SC_SC_S6_SC_PS7_PNS_15floating_traitsIS7_E6data_tEPKSG_
		.amdhsa_group_segment_fixed_size 128
		.amdhsa_private_segment_fixed_size 0
		.amdhsa_kernarg_size 120
		.amdhsa_user_sgpr_count 15
		.amdhsa_user_sgpr_dispatch_ptr 0
		.amdhsa_user_sgpr_queue_ptr 0
		.amdhsa_user_sgpr_kernarg_segment_ptr 1
		.amdhsa_user_sgpr_dispatch_id 0
		.amdhsa_user_sgpr_private_segment_size 0
		.amdhsa_wavefront_size32 1
		.amdhsa_uses_dynamic_stack 0
		.amdhsa_enable_private_segment 0
		.amdhsa_system_sgpr_workgroup_id_x 1
		.amdhsa_system_sgpr_workgroup_id_y 0
		.amdhsa_system_sgpr_workgroup_id_z 0
		.amdhsa_system_sgpr_workgroup_info 0
		.amdhsa_system_vgpr_workitem_id 0
		.amdhsa_next_free_vgpr 25
		.amdhsa_next_free_sgpr 37
		.amdhsa_reserve_vcc 1
		.amdhsa_float_round_mode_32 0
		.amdhsa_float_round_mode_16_64 0
		.amdhsa_float_denorm_mode_32 3
		.amdhsa_float_denorm_mode_16_64 3
		.amdhsa_dx10_clamp 1
		.amdhsa_ieee_mode 1
		.amdhsa_fp16_overflow 0
		.amdhsa_workgroup_processor_mode 1
		.amdhsa_memory_ordered 1
		.amdhsa_forward_progress 0
		.amdhsa_shared_vgpr_count 0
		.amdhsa_exception_fp_ieee_invalid_op 0
		.amdhsa_exception_fp_denorm_src 0
		.amdhsa_exception_fp_ieee_div_zero 0
		.amdhsa_exception_fp_ieee_overflow 0
		.amdhsa_exception_fp_ieee_underflow 0
		.amdhsa_exception_fp_ieee_inexact 0
		.amdhsa_exception_int_div_zero 0
	.end_amdhsa_kernel
	.section	.text._ZN9rocsparseL20kernel_calculate_cooILi1024ELi32ELb1E21rocsparse_complex_numIfEiiEEvT4_T3_PKS3_S6_PKT2_21rocsparse_index_base_PKS4_SC_S6_SC_SC_S6_SC_PS7_PNS_15floating_traitsIS7_E6data_tEPKSG_,"axG",@progbits,_ZN9rocsparseL20kernel_calculate_cooILi1024ELi32ELb1E21rocsparse_complex_numIfEiiEEvT4_T3_PKS3_S6_PKT2_21rocsparse_index_base_PKS4_SC_S6_SC_SC_S6_SC_PS7_PNS_15floating_traitsIS7_E6data_tEPKSG_,comdat
.Lfunc_end36:
	.size	_ZN9rocsparseL20kernel_calculate_cooILi1024ELi32ELb1E21rocsparse_complex_numIfEiiEEvT4_T3_PKS3_S6_PKT2_21rocsparse_index_base_PKS4_SC_S6_SC_SC_S6_SC_PS7_PNS_15floating_traitsIS7_E6data_tEPKSG_, .Lfunc_end36-_ZN9rocsparseL20kernel_calculate_cooILi1024ELi32ELb1E21rocsparse_complex_numIfEiiEEvT4_T3_PKS3_S6_PKT2_21rocsparse_index_base_PKS4_SC_S6_SC_SC_S6_SC_PS7_PNS_15floating_traitsIS7_E6data_tEPKSG_
                                        ; -- End function
	.section	.AMDGPU.csdata,"",@progbits
; Kernel info:
; codeLenInByte = 3824
; NumSgprs: 39
; NumVgprs: 25
; ScratchSize: 0
; MemoryBound: 0
; FloatMode: 240
; IeeeMode: 1
; LDSByteSize: 128 bytes/workgroup (compile time only)
; SGPRBlocks: 4
; VGPRBlocks: 3
; NumSGPRsForWavesPerEU: 39
; NumVGPRsForWavesPerEU: 25
; Occupancy: 16
; WaveLimiterHint : 1
; COMPUTE_PGM_RSRC2:SCRATCH_EN: 0
; COMPUTE_PGM_RSRC2:USER_SGPR: 15
; COMPUTE_PGM_RSRC2:TRAP_HANDLER: 0
; COMPUTE_PGM_RSRC2:TGID_X_EN: 1
; COMPUTE_PGM_RSRC2:TGID_Y_EN: 0
; COMPUTE_PGM_RSRC2:TGID_Z_EN: 0
; COMPUTE_PGM_RSRC2:TIDIG_COMP_CNT: 0
	.section	.text._ZN9rocsparseL20kernel_calculate_cooILi1024ELi64ELb1E21rocsparse_complex_numIfEiiEEvT4_T3_PKS3_S6_PKT2_21rocsparse_index_base_PKS4_SC_S6_SC_SC_S6_SC_PS7_PNS_15floating_traitsIS7_E6data_tEPKSG_,"axG",@progbits,_ZN9rocsparseL20kernel_calculate_cooILi1024ELi64ELb1E21rocsparse_complex_numIfEiiEEvT4_T3_PKS3_S6_PKT2_21rocsparse_index_base_PKS4_SC_S6_SC_SC_S6_SC_PS7_PNS_15floating_traitsIS7_E6data_tEPKSG_,comdat
	.globl	_ZN9rocsparseL20kernel_calculate_cooILi1024ELi64ELb1E21rocsparse_complex_numIfEiiEEvT4_T3_PKS3_S6_PKT2_21rocsparse_index_base_PKS4_SC_S6_SC_SC_S6_SC_PS7_PNS_15floating_traitsIS7_E6data_tEPKSG_ ; -- Begin function _ZN9rocsparseL20kernel_calculate_cooILi1024ELi64ELb1E21rocsparse_complex_numIfEiiEEvT4_T3_PKS3_S6_PKT2_21rocsparse_index_base_PKS4_SC_S6_SC_SC_S6_SC_PS7_PNS_15floating_traitsIS7_E6data_tEPKSG_
	.p2align	8
	.type	_ZN9rocsparseL20kernel_calculate_cooILi1024ELi64ELb1E21rocsparse_complex_numIfEiiEEvT4_T3_PKS3_S6_PKT2_21rocsparse_index_base_PKS4_SC_S6_SC_SC_S6_SC_PS7_PNS_15floating_traitsIS7_E6data_tEPKSG_,@function
_ZN9rocsparseL20kernel_calculate_cooILi1024ELi64ELb1E21rocsparse_complex_numIfEiiEEvT4_T3_PKS3_S6_PKT2_21rocsparse_index_base_PKS4_SC_S6_SC_SC_S6_SC_PS7_PNS_15floating_traitsIS7_E6data_tEPKSG_: ; @_ZN9rocsparseL20kernel_calculate_cooILi1024ELi64ELb1E21rocsparse_complex_numIfEiiEEvT4_T3_PKS3_S6_PKT2_21rocsparse_index_base_PKS4_SC_S6_SC_SC_S6_SC_PS7_PNS_15floating_traitsIS7_E6data_tEPKSG_
; %bb.0:
	s_load_b32 s3, s[0:1], 0x4
	v_lshl_or_b32 v1, s15, 16, v0
	v_mov_b32_e32 v16, 0
	s_mov_b32 s26, exec_lo
	s_waitcnt lgkmcnt(0)
	s_delay_alu instid0(VALU_DEP_2)
	v_cmpx_gt_i32_e64 s3, v1
	s_cbranch_execz .LBB37_43
; %bb.1:
	s_clause 0x4
	s_load_b256 s[4:11], s[0:1], 0x48
	s_load_b128 s[20:23], s[0:1], 0x8
	s_load_b64 s[24:25], s[0:1], 0x18
	s_load_b256 s[12:19], s[0:1], 0x28
	s_load_b32 s27, s[0:1], 0x20
	v_mov_b32_e32 v16, 0
	s_mov_b32 s28, 0
	s_branch .LBB37_4
.LBB37_2:                               ;   in Loop: Header=BB37_4 Depth=1
	s_or_b32 exec_lo, exec_lo, s31
	s_or_b32 vcc_lo, s30, vcc_lo
	v_cndmask_b32_e32 v16, v6, v16, vcc_lo
.LBB37_3:                               ;   in Loop: Header=BB37_4 Depth=1
	s_or_b32 exec_lo, exec_lo, s29
	v_add_nc_u32_e32 v1, 0x400, v1
	s_add_i32 s28, s28, 1
	s_delay_alu instid0(SALU_CYCLE_1)
	s_cmp_lg_u32 s28, 64
	s_cbranch_scc0 .LBB37_43
.LBB37_4:                               ; =>This Loop Header: Depth=1
                                        ;     Child Loop BB37_8 Depth 2
                                        ;     Child Loop BB37_16 Depth 2
	;; [unrolled: 1-line block ×3, first 2 shown]
	s_mov_b32 s29, exec_lo
	v_cmpx_gt_i32_e64 s3, v1
	s_cbranch_execz .LBB37_3
; %bb.5:                                ;   in Loop: Header=BB37_4 Depth=1
	v_ashrrev_i32_e32 v2, 31, v1
	s_delay_alu instid0(VALU_DEP_1) | instskip(SKIP_1) | instid1(VALU_DEP_1)
	v_lshlrev_b64 v[3:4], 2, v[1:2]
	s_waitcnt lgkmcnt(0)
	v_add_co_u32 v5, vcc_lo, s22, v3
	s_delay_alu instid0(VALU_DEP_2)
	v_add_co_ci_u32_e32 v6, vcc_lo, s23, v4, vcc_lo
	v_add_co_u32 v3, vcc_lo, s20, v3
	v_add_co_ci_u32_e32 v4, vcc_lo, s21, v4, vcc_lo
	global_load_b32 v17, v[5:6], off
	global_load_b32 v18, v[3:4], off
	s_waitcnt vmcnt(1)
	v_subrev_nc_u32_e32 v3, s27, v17
	s_delay_alu instid0(VALU_DEP_1) | instskip(NEXT) | instid1(VALU_DEP_1)
	v_ashrrev_i32_e32 v4, 31, v3
	v_lshlrev_b64 v[4:5], 2, v[3:4]
	v_lshlrev_b64 v[2:3], 3, v[1:2]
	s_delay_alu instid0(VALU_DEP_2) | instskip(NEXT) | instid1(VALU_DEP_3)
	v_add_co_u32 v6, vcc_lo, s14, v4
	v_add_co_ci_u32_e32 v7, vcc_lo, s15, v5, vcc_lo
	global_load_b32 v10, v[6:7], off
	s_waitcnt vmcnt(1)
	v_subrev_nc_u32_e32 v6, s27, v18
	s_delay_alu instid0(VALU_DEP_1) | instskip(NEXT) | instid1(VALU_DEP_1)
	v_ashrrev_i32_e32 v7, 31, v6
	v_lshlrev_b64 v[6:7], 2, v[6:7]
	s_delay_alu instid0(VALU_DEP_1) | instskip(NEXT) | instid1(VALU_DEP_2)
	v_add_co_u32 v8, vcc_lo, s14, v6
	v_add_co_ci_u32_e32 v9, vcc_lo, s15, v7, vcc_lo
	global_load_b32 v14, v[8:9], off
	v_add_co_u32 v8, vcc_lo, s4, v4
	v_add_co_ci_u32_e32 v9, vcc_lo, s5, v5, vcc_lo
	v_add_co_u32 v6, vcc_lo, s12, v6
	v_add_co_ci_u32_e32 v7, vcc_lo, s13, v7, vcc_lo
	v_add_co_u32 v4, vcc_lo, s18, v4
	global_load_b32 v15, v[8:9], off
	v_add_co_ci_u32_e32 v5, vcc_lo, s19, v5, vcc_lo
	global_load_b32 v20, v[6:7], off
	global_load_b32 v21, v[4:5], off
	s_waitcnt vmcnt(4)
	v_subrev_nc_u32_e32 v10, s27, v10
	s_delay_alu instid0(VALU_DEP_1) | instskip(NEXT) | instid1(VALU_DEP_1)
	v_ashrrev_i32_e32 v11, 31, v10
	v_lshlrev_b64 v[8:9], 3, v[10:11]
	v_add_co_u32 v10, vcc_lo, s24, v2
	v_add_co_ci_u32_e32 v11, vcc_lo, s25, v3, vcc_lo
	s_delay_alu instid0(VALU_DEP_3) | instskip(NEXT) | instid1(VALU_DEP_4)
	v_add_co_u32 v4, vcc_lo, s10, v8
	v_add_co_ci_u32_e32 v5, vcc_lo, s11, v9, vcc_lo
	global_load_b64 v[12:13], v[10:11], off
	global_load_b64 v[6:7], v[4:5], off
	s_waitcnt vmcnt(5)
	v_subrev_nc_u32_e32 v19, s27, v14
	s_waitcnt vmcnt(4)
	v_subrev_nc_u32_e32 v22, s27, v15
	s_waitcnt vmcnt(3)
	v_cmp_lt_i32_e32 vcc_lo, v20, v14
	s_waitcnt vmcnt(2)
	v_cmp_lt_i32_e64 s2, v21, v15
	v_subrev_nc_u32_e32 v8, s27, v20
	v_subrev_nc_u32_e32 v10, s27, v21
	v_dual_mov_b32 v14, 0 :: v_dual_mov_b32 v15, 0
	s_delay_alu instid0(VALU_DEP_4) | instskip(NEXT) | instid1(SALU_CYCLE_1)
	s_and_b32 s2, vcc_lo, s2
	s_and_saveexec_b32 s30, s2
	s_cbranch_execz .LBB37_11
; %bb.6:                                ;   in Loop: Header=BB37_4 Depth=1
	v_dual_mov_b32 v14, 0 :: v_dual_mov_b32 v15, 0
	s_mov_b32 s31, 0
	s_branch .LBB37_8
.LBB37_7:                               ;   in Loop: Header=BB37_8 Depth=2
	s_or_b32 exec_lo, exec_lo, s2
	v_cmp_le_i32_e32 vcc_lo, v11, v20
	v_add_co_ci_u32_e32 v8, vcc_lo, 0, v8, vcc_lo
	v_cmp_ge_i32_e32 vcc_lo, v11, v20
	v_add_co_ci_u32_e32 v10, vcc_lo, 0, v10, vcc_lo
	s_delay_alu instid0(VALU_DEP_3) | instskip(NEXT) | instid1(VALU_DEP_2)
	v_cmp_ge_i32_e32 vcc_lo, v8, v19
	v_cmp_ge_i32_e64 s2, v10, v22
	s_delay_alu instid0(VALU_DEP_1) | instskip(NEXT) | instid1(SALU_CYCLE_1)
	s_or_b32 s2, vcc_lo, s2
	s_and_b32 s2, exec_lo, s2
	s_delay_alu instid0(SALU_CYCLE_1) | instskip(NEXT) | instid1(SALU_CYCLE_1)
	s_or_b32 s31, s2, s31
	s_and_not1_b32 exec_lo, exec_lo, s31
	s_cbranch_execz .LBB37_10
.LBB37_8:                               ;   Parent Loop BB37_4 Depth=1
                                        ; =>  This Inner Loop Header: Depth=2
	v_ashrrev_i32_e32 v9, 31, v8
	v_ashrrev_i32_e32 v11, 31, v10
	s_mov_b32 s2, exec_lo
	s_delay_alu instid0(VALU_DEP_2) | instskip(NEXT) | instid1(VALU_DEP_2)
	v_lshlrev_b64 v[20:21], 2, v[8:9]
	v_lshlrev_b64 v[4:5], 2, v[10:11]
	s_delay_alu instid0(VALU_DEP_2) | instskip(NEXT) | instid1(VALU_DEP_3)
	v_add_co_u32 v20, vcc_lo, s16, v20
	v_add_co_ci_u32_e32 v21, vcc_lo, s17, v21, vcc_lo
	s_delay_alu instid0(VALU_DEP_3) | instskip(NEXT) | instid1(VALU_DEP_4)
	v_add_co_u32 v23, vcc_lo, s6, v4
	v_add_co_ci_u32_e32 v24, vcc_lo, s7, v5, vcc_lo
	global_load_b32 v11, v[20:21], off
	global_load_b32 v20, v[23:24], off
	s_waitcnt vmcnt(0)
	v_cmpx_eq_u32_e64 v11, v20
	s_cbranch_execz .LBB37_7
; %bb.9:                                ;   in Loop: Header=BB37_8 Depth=2
	v_add_co_u32 v4, vcc_lo, s8, v4
	v_add_co_ci_u32_e32 v5, vcc_lo, s9, v5, vcc_lo
	v_lshlrev_b64 v[23:24], 3, v[8:9]
	global_load_b32 v4, v[4:5], off
	v_add_co_u32 v23, vcc_lo, s10, v23
	v_add_co_ci_u32_e32 v24, vcc_lo, s11, v24, vcc_lo
	s_waitcnt vmcnt(0)
	v_ashrrev_i32_e32 v5, 31, v4
	s_delay_alu instid0(VALU_DEP_1) | instskip(NEXT) | instid1(VALU_DEP_1)
	v_lshlrev_b64 v[4:5], 3, v[4:5]
	v_add_co_u32 v4, vcc_lo, s10, v4
	s_delay_alu instid0(VALU_DEP_2)
	v_add_co_ci_u32_e32 v5, vcc_lo, s11, v5, vcc_lo
	s_clause 0x1
	global_load_b64 v[23:24], v[23:24], off
	global_load_b64 v[4:5], v[4:5], off
	s_waitcnt vmcnt(0)
	v_fmac_f32_e32 v14, v23, v4
	v_fmac_f32_e32 v15, v24, v4
	s_delay_alu instid0(VALU_DEP_2) | instskip(NEXT) | instid1(VALU_DEP_2)
	v_fma_f32 v14, -v24, v5, v14
	v_fmac_f32_e32 v15, v23, v5
	s_branch .LBB37_7
.LBB37_10:                              ;   in Loop: Header=BB37_4 Depth=1
	s_or_b32 exec_lo, exec_lo, s31
.LBB37_11:                              ;   in Loop: Header=BB37_4 Depth=1
	s_delay_alu instid0(SALU_CYCLE_1)
	s_or_b32 exec_lo, exec_lo, s30
	s_waitcnt vmcnt(1)
	v_dual_sub_f32 v4, v12, v14 :: v_dual_sub_f32 v5, v13, v15
	s_mov_b32 s2, exec_lo
	v_cmpx_gt_i32_e64 v18, v17
	s_cbranch_execz .LBB37_13
; %bb.12:                               ;   in Loop: Header=BB37_4 Depth=1
	s_waitcnt vmcnt(0)
	v_mul_f32_e32 v9, v7, v7
	s_delay_alu instid0(VALU_DEP_1) | instskip(NEXT) | instid1(VALU_DEP_1)
	v_fmac_f32_e32 v9, v6, v6
	v_div_scale_f32 v11, null, v9, v9, 1.0
	v_div_scale_f32 v23, vcc_lo, 1.0, v9, 1.0
	s_delay_alu instid0(VALU_DEP_2) | instskip(SKIP_2) | instid1(VALU_DEP_1)
	v_rcp_f32_e32 v20, v11
	s_waitcnt_depctr 0xfff
	v_fma_f32 v21, -v11, v20, 1.0
	v_fmac_f32_e32 v20, v21, v20
	s_delay_alu instid0(VALU_DEP_1) | instskip(NEXT) | instid1(VALU_DEP_1)
	v_mul_f32_e32 v21, v23, v20
	v_fma_f32 v24, -v11, v21, v23
	s_delay_alu instid0(VALU_DEP_1) | instskip(NEXT) | instid1(VALU_DEP_1)
	v_fmac_f32_e32 v21, v24, v20
	v_fma_f32 v11, -v11, v21, v23
	s_delay_alu instid0(VALU_DEP_1) | instskip(SKIP_2) | instid1(VALU_DEP_3)
	v_div_fmas_f32 v11, v11, v20, v21
	v_mul_f32_e32 v20, v7, v5
	v_mul_f32_e64 v21, v7, -v4
	v_div_fixup_f32 v9, v11, v9, 1.0
	s_delay_alu instid0(VALU_DEP_3) | instskip(NEXT) | instid1(VALU_DEP_3)
	v_fmac_f32_e32 v20, v4, v6
	v_fmac_f32_e32 v21, v5, v6
	s_delay_alu instid0(VALU_DEP_2) | instskip(NEXT) | instid1(VALU_DEP_2)
	v_mul_f32_e32 v4, v9, v20
	v_mul_f32_e32 v5, v9, v21
.LBB37_13:                              ;   in Loop: Header=BB37_4 Depth=1
	s_or_b32 exec_lo, exec_lo, s2
	v_dual_sub_f32 v20, v14, v12 :: v_dual_sub_f32 v21, v15, v13
	s_mov_b32 s30, exec_lo
	v_cmpx_lt_i32_e64 v10, v22
	s_cbranch_execz .LBB37_21
; %bb.14:                               ;   in Loop: Header=BB37_4 Depth=1
	v_ashrrev_i32_e32 v11, 31, v10
	s_mov_b32 s33, 0
                                        ; implicit-def: $sgpr31
                                        ; implicit-def: $sgpr35
                                        ; implicit-def: $sgpr34
	s_delay_alu instid0(VALU_DEP_1) | instskip(NEXT) | instid1(VALU_DEP_1)
	v_lshlrev_b64 v[12:13], 2, v[10:11]
	v_add_co_u32 v12, vcc_lo, s6, v12
	s_delay_alu instid0(VALU_DEP_2)
	v_add_co_ci_u32_e32 v13, vcc_lo, s7, v13, vcc_lo
	s_set_inst_prefetch_distance 0x1
	s_branch .LBB37_16
	.p2align	6
.LBB37_15:                              ;   in Loop: Header=BB37_16 Depth=2
	s_or_b32 exec_lo, exec_lo, s36
	s_delay_alu instid0(SALU_CYCLE_1) | instskip(NEXT) | instid1(SALU_CYCLE_1)
	s_and_b32 s2, exec_lo, s35
	s_or_b32 s33, s2, s33
	s_and_not1_b32 s2, s31, exec_lo
	s_and_b32 s31, s34, exec_lo
	s_delay_alu instid0(SALU_CYCLE_1)
	s_or_b32 s31, s2, s31
	s_and_not1_b32 exec_lo, exec_lo, s33
	s_cbranch_execz .LBB37_18
.LBB37_16:                              ;   Parent Loop BB37_4 Depth=1
                                        ; =>  This Inner Loop Header: Depth=2
	global_load_b32 v9, v[12:13], off
	v_dual_mov_b32 v15, v11 :: v_dual_mov_b32 v14, v10
	s_or_b32 s34, s34, exec_lo
	s_or_b32 s35, s35, exec_lo
	s_mov_b32 s36, exec_lo
                                        ; implicit-def: $vgpr10_vgpr11
	s_waitcnt vmcnt(0)
	v_cmpx_ne_u32_e64 v9, v18
	s_cbranch_execz .LBB37_15
; %bb.17:                               ;   in Loop: Header=BB37_16 Depth=2
	v_add_co_u32 v10, vcc_lo, v14, 1
	v_add_co_ci_u32_e32 v11, vcc_lo, 0, v15, vcc_lo
	v_add_co_u32 v12, s2, v12, 4
	s_delay_alu instid0(VALU_DEP_3) | instskip(SKIP_4) | instid1(SALU_CYCLE_1)
	v_cmp_ge_i32_e32 vcc_lo, v10, v22
	v_add_co_ci_u32_e64 v13, s2, 0, v13, s2
	s_and_not1_b32 s2, s35, exec_lo
	s_and_not1_b32 s34, s34, exec_lo
	s_and_b32 s35, vcc_lo, exec_lo
	s_or_b32 s35, s2, s35
	s_branch .LBB37_15
.LBB37_18:                              ;   in Loop: Header=BB37_4 Depth=1
	s_set_inst_prefetch_distance 0x2
	s_or_b32 exec_lo, exec_lo, s33
	s_and_saveexec_b32 s2, s31
	s_delay_alu instid0(SALU_CYCLE_1)
	s_xor_b32 s2, exec_lo, s2
	s_cbranch_execz .LBB37_20
; %bb.19:                               ;   in Loop: Header=BB37_4 Depth=1
	v_lshlrev_b64 v[9:10], 2, v[14:15]
	s_delay_alu instid0(VALU_DEP_1) | instskip(NEXT) | instid1(VALU_DEP_2)
	v_add_co_u32 v9, vcc_lo, s8, v9
	v_add_co_ci_u32_e32 v10, vcc_lo, s9, v10, vcc_lo
	global_load_b32 v9, v[9:10], off
	s_waitcnt vmcnt(0)
	v_ashrrev_i32_e32 v10, 31, v9
	s_delay_alu instid0(VALU_DEP_1) | instskip(NEXT) | instid1(VALU_DEP_1)
	v_lshlrev_b64 v[9:10], 3, v[9:10]
	v_add_co_u32 v9, vcc_lo, s10, v9
	s_delay_alu instid0(VALU_DEP_2)
	v_add_co_ci_u32_e32 v10, vcc_lo, s11, v10, vcc_lo
	global_load_b64 v[9:10], v[9:10], off
	s_waitcnt vmcnt(0)
	v_dual_add_f32 v20, v20, v9 :: v_dual_add_f32 v21, v21, v10
.LBB37_20:                              ;   in Loop: Header=BB37_4 Depth=1
	s_or_b32 exec_lo, exec_lo, s2
.LBB37_21:                              ;   in Loop: Header=BB37_4 Depth=1
	s_delay_alu instid0(SALU_CYCLE_1) | instskip(NEXT) | instid1(SALU_CYCLE_1)
	s_or_b32 exec_lo, exec_lo, s30
	s_mov_b32 s30, exec_lo
	v_cmpx_lt_i32_e64 v8, v19
	s_cbranch_execz .LBB37_29
; %bb.22:                               ;   in Loop: Header=BB37_4 Depth=1
	v_ashrrev_i32_e32 v9, 31, v8
	s_mov_b32 s33, 0
                                        ; implicit-def: $sgpr31
                                        ; implicit-def: $sgpr35
                                        ; implicit-def: $sgpr34
	s_delay_alu instid0(VALU_DEP_1) | instskip(NEXT) | instid1(VALU_DEP_1)
	v_lshlrev_b64 v[10:11], 2, v[8:9]
	v_add_co_u32 v10, vcc_lo, s16, v10
	s_delay_alu instid0(VALU_DEP_2)
	v_add_co_ci_u32_e32 v11, vcc_lo, s17, v11, vcc_lo
	s_set_inst_prefetch_distance 0x1
	s_branch .LBB37_24
	.p2align	6
.LBB37_23:                              ;   in Loop: Header=BB37_24 Depth=2
	s_or_b32 exec_lo, exec_lo, s36
	s_delay_alu instid0(SALU_CYCLE_1) | instskip(NEXT) | instid1(SALU_CYCLE_1)
	s_and_b32 s2, exec_lo, s35
	s_or_b32 s33, s2, s33
	s_and_not1_b32 s2, s31, exec_lo
	s_and_b32 s31, s34, exec_lo
	s_delay_alu instid0(SALU_CYCLE_1)
	s_or_b32 s31, s2, s31
	s_and_not1_b32 exec_lo, exec_lo, s33
	s_cbranch_execz .LBB37_26
.LBB37_24:                              ;   Parent Loop BB37_4 Depth=1
                                        ; =>  This Inner Loop Header: Depth=2
	global_load_b32 v14, v[10:11], off
	v_dual_mov_b32 v13, v9 :: v_dual_mov_b32 v12, v8
	s_or_b32 s34, s34, exec_lo
	s_or_b32 s35, s35, exec_lo
	s_mov_b32 s36, exec_lo
                                        ; implicit-def: $vgpr8_vgpr9
	s_waitcnt vmcnt(0)
	v_cmpx_ne_u32_e64 v14, v17
	s_cbranch_execz .LBB37_23
; %bb.25:                               ;   in Loop: Header=BB37_24 Depth=2
	v_add_co_u32 v8, vcc_lo, v12, 1
	v_add_co_ci_u32_e32 v9, vcc_lo, 0, v13, vcc_lo
	v_add_co_u32 v10, s2, v10, 4
	s_delay_alu instid0(VALU_DEP_3) | instskip(SKIP_4) | instid1(SALU_CYCLE_1)
	v_cmp_ge_i32_e32 vcc_lo, v8, v19
	v_add_co_ci_u32_e64 v11, s2, 0, v11, s2
	s_and_not1_b32 s2, s35, exec_lo
	s_and_not1_b32 s34, s34, exec_lo
	s_and_b32 s35, vcc_lo, exec_lo
	s_or_b32 s35, s2, s35
	s_branch .LBB37_23
.LBB37_26:                              ;   in Loop: Header=BB37_4 Depth=1
	s_set_inst_prefetch_distance 0x2
	s_or_b32 exec_lo, exec_lo, s33
	s_and_saveexec_b32 s2, s31
	s_delay_alu instid0(SALU_CYCLE_1)
	s_xor_b32 s2, exec_lo, s2
	s_cbranch_execz .LBB37_28
; %bb.27:                               ;   in Loop: Header=BB37_4 Depth=1
	v_lshlrev_b64 v[8:9], 3, v[12:13]
	s_delay_alu instid0(VALU_DEP_1) | instskip(NEXT) | instid1(VALU_DEP_2)
	v_add_co_u32 v8, vcc_lo, s10, v8
	v_add_co_ci_u32_e32 v9, vcc_lo, s11, v9, vcc_lo
	global_load_b64 v[8:9], v[8:9], off
	s_waitcnt vmcnt(0)
	v_fmac_f32_e32 v20, v8, v6
	v_fmac_f32_e32 v21, v9, v6
	s_delay_alu instid0(VALU_DEP_2) | instskip(NEXT) | instid1(VALU_DEP_2)
	v_fma_f32 v20, -v9, v7, v20
	v_fmac_f32_e32 v21, v8, v7
.LBB37_28:                              ;   in Loop: Header=BB37_4 Depth=1
	s_or_b32 exec_lo, exec_lo, s2
.LBB37_29:                              ;   in Loop: Header=BB37_4 Depth=1
	s_delay_alu instid0(SALU_CYCLE_1) | instskip(SKIP_1) | instid1(VALU_DEP_1)
	s_or_b32 exec_lo, exec_lo, s30
	s_waitcnt vmcnt(0)
	v_dual_add_f32 v6, v6, v20 :: v_dual_add_f32 v7, v7, v21
	v_cmp_eq_u32_e32 vcc_lo, v18, v17
	s_mov_b32 s2, exec_lo
	s_delay_alu instid0(VALU_DEP_2) | instskip(NEXT) | instid1(VALU_DEP_1)
	v_dual_cndmask_b32 v9, v21, v7 :: v_dual_cndmask_b32 v6, v20, v6
	v_cmp_gt_f32_e32 vcc_lo, 0, v6
	v_cndmask_b32_e64 v7, v6, -v6, vcc_lo
	s_delay_alu instid0(VALU_DEP_3) | instskip(SKIP_1) | instid1(VALU_DEP_1)
	v_cmp_gt_f32_e32 vcc_lo, 0, v9
                                        ; implicit-def: $vgpr6
	v_cndmask_b32_e64 v8, v9, -v9, vcc_lo
	v_cmpx_ngt_f32_e32 v7, v8
	s_xor_b32 s30, exec_lo, s2
	s_cbranch_execz .LBB37_33
; %bb.30:                               ;   in Loop: Header=BB37_4 Depth=1
	v_mov_b32_e32 v6, 0
	s_mov_b32 s31, exec_lo
	v_cmpx_neq_f32_e32 0, v9
	s_cbranch_execz .LBB37_32
; %bb.31:                               ;   in Loop: Header=BB37_4 Depth=1
	v_div_scale_f32 v6, null, v8, v8, v7
	v_div_scale_f32 v11, vcc_lo, v7, v8, v7
	s_delay_alu instid0(VALU_DEP_2) | instskip(SKIP_2) | instid1(VALU_DEP_1)
	v_rcp_f32_e32 v9, v6
	s_waitcnt_depctr 0xfff
	v_fma_f32 v10, -v6, v9, 1.0
	v_fmac_f32_e32 v9, v10, v9
	s_delay_alu instid0(VALU_DEP_1) | instskip(NEXT) | instid1(VALU_DEP_1)
	v_mul_f32_e32 v10, v11, v9
	v_fma_f32 v12, -v6, v10, v11
	s_delay_alu instid0(VALU_DEP_1) | instskip(NEXT) | instid1(VALU_DEP_1)
	v_fmac_f32_e32 v10, v12, v9
	v_fma_f32 v6, -v6, v10, v11
	s_delay_alu instid0(VALU_DEP_1) | instskip(NEXT) | instid1(VALU_DEP_1)
	v_div_fmas_f32 v6, v6, v9, v10
	v_div_fixup_f32 v6, v6, v8, v7
	s_delay_alu instid0(VALU_DEP_1) | instskip(NEXT) | instid1(VALU_DEP_1)
	v_fma_f32 v6, v6, v6, 1.0
	v_mul_f32_e32 v7, 0x4f800000, v6
	v_cmp_gt_f32_e32 vcc_lo, 0xf800000, v6
	s_delay_alu instid0(VALU_DEP_2) | instskip(NEXT) | instid1(VALU_DEP_1)
	v_cndmask_b32_e32 v6, v6, v7, vcc_lo
	v_sqrt_f32_e32 v7, v6
	s_waitcnt_depctr 0xfff
	v_add_nc_u32_e32 v9, -1, v7
	v_add_nc_u32_e32 v10, 1, v7
	s_delay_alu instid0(VALU_DEP_2) | instskip(NEXT) | instid1(VALU_DEP_2)
	v_fma_f32 v11, -v9, v7, v6
	v_fma_f32 v12, -v10, v7, v6
	s_delay_alu instid0(VALU_DEP_2) | instskip(NEXT) | instid1(VALU_DEP_1)
	v_cmp_ge_f32_e64 s2, 0, v11
	v_cndmask_b32_e64 v7, v7, v9, s2
	s_delay_alu instid0(VALU_DEP_3) | instskip(NEXT) | instid1(VALU_DEP_1)
	v_cmp_lt_f32_e64 s2, 0, v12
	v_cndmask_b32_e64 v7, v7, v10, s2
	s_delay_alu instid0(VALU_DEP_1) | instskip(NEXT) | instid1(VALU_DEP_1)
	v_mul_f32_e32 v9, 0x37800000, v7
	v_cndmask_b32_e32 v7, v7, v9, vcc_lo
	v_cmp_class_f32_e64 vcc_lo, v6, 0x260
	s_delay_alu instid0(VALU_DEP_2) | instskip(NEXT) | instid1(VALU_DEP_1)
	v_cndmask_b32_e32 v6, v7, v6, vcc_lo
	v_mul_f32_e32 v6, v8, v6
.LBB37_32:                              ;   in Loop: Header=BB37_4 Depth=1
	s_or_b32 exec_lo, exec_lo, s31
                                        ; implicit-def: $vgpr7
                                        ; implicit-def: $vgpr8
.LBB37_33:                              ;   in Loop: Header=BB37_4 Depth=1
	s_and_not1_saveexec_b32 s30, s30
	s_cbranch_execz .LBB37_35
; %bb.34:                               ;   in Loop: Header=BB37_4 Depth=1
	v_div_scale_f32 v6, null, v7, v7, v8
	v_div_scale_f32 v11, vcc_lo, v8, v7, v8
	s_delay_alu instid0(VALU_DEP_2) | instskip(SKIP_2) | instid1(VALU_DEP_1)
	v_rcp_f32_e32 v9, v6
	s_waitcnt_depctr 0xfff
	v_fma_f32 v10, -v6, v9, 1.0
	v_fmac_f32_e32 v9, v10, v9
	s_delay_alu instid0(VALU_DEP_1) | instskip(NEXT) | instid1(VALU_DEP_1)
	v_mul_f32_e32 v10, v11, v9
	v_fma_f32 v12, -v6, v10, v11
	s_delay_alu instid0(VALU_DEP_1) | instskip(NEXT) | instid1(VALU_DEP_1)
	v_fmac_f32_e32 v10, v12, v9
	v_fma_f32 v6, -v6, v10, v11
	s_delay_alu instid0(VALU_DEP_1) | instskip(NEXT) | instid1(VALU_DEP_1)
	v_div_fmas_f32 v6, v6, v9, v10
	v_div_fixup_f32 v6, v6, v7, v8
	s_delay_alu instid0(VALU_DEP_1) | instskip(NEXT) | instid1(VALU_DEP_1)
	v_fma_f32 v6, v6, v6, 1.0
	v_mul_f32_e32 v8, 0x4f800000, v6
	v_cmp_gt_f32_e32 vcc_lo, 0xf800000, v6
	s_delay_alu instid0(VALU_DEP_2) | instskip(NEXT) | instid1(VALU_DEP_1)
	v_cndmask_b32_e32 v6, v6, v8, vcc_lo
	v_sqrt_f32_e32 v8, v6
	s_waitcnt_depctr 0xfff
	v_add_nc_u32_e32 v9, -1, v8
	v_add_nc_u32_e32 v10, 1, v8
	s_delay_alu instid0(VALU_DEP_2) | instskip(NEXT) | instid1(VALU_DEP_2)
	v_fma_f32 v11, -v9, v8, v6
	v_fma_f32 v12, -v10, v8, v6
	s_delay_alu instid0(VALU_DEP_2) | instskip(NEXT) | instid1(VALU_DEP_1)
	v_cmp_ge_f32_e64 s2, 0, v11
	v_cndmask_b32_e64 v8, v8, v9, s2
	s_delay_alu instid0(VALU_DEP_3) | instskip(NEXT) | instid1(VALU_DEP_1)
	v_cmp_lt_f32_e64 s2, 0, v12
	v_cndmask_b32_e64 v8, v8, v10, s2
	s_delay_alu instid0(VALU_DEP_1) | instskip(NEXT) | instid1(VALU_DEP_1)
	v_mul_f32_e32 v9, 0x37800000, v8
	v_cndmask_b32_e32 v8, v8, v9, vcc_lo
	v_cmp_class_f32_e64 vcc_lo, v6, 0x260
	s_delay_alu instid0(VALU_DEP_2) | instskip(NEXT) | instid1(VALU_DEP_1)
	v_cndmask_b32_e32 v6, v8, v6, vcc_lo
	v_mul_f32_e32 v6, v7, v6
.LBB37_35:                              ;   in Loop: Header=BB37_4 Depth=1
	s_or_b32 exec_lo, exec_lo, s30
	v_cmp_gt_f32_e32 vcc_lo, 0, v4
                                        ; implicit-def: $vgpr9
	s_mov_b32 s2, exec_lo
	v_cndmask_b32_e64 v7, v4, -v4, vcc_lo
	v_cmp_gt_f32_e32 vcc_lo, 0, v5
	v_cndmask_b32_e64 v8, v5, -v5, vcc_lo
	s_delay_alu instid0(VALU_DEP_1)
	v_cmpx_ngt_f32_e32 v7, v8
	s_xor_b32 s30, exec_lo, s2
	s_cbranch_execz .LBB37_39
; %bb.36:                               ;   in Loop: Header=BB37_4 Depth=1
	v_mov_b32_e32 v9, 0
	s_mov_b32 s31, exec_lo
	v_cmpx_neq_f32_e32 0, v5
	s_cbranch_execz .LBB37_38
; %bb.37:                               ;   in Loop: Header=BB37_4 Depth=1
	v_div_scale_f32 v9, null, v8, v8, v7
	v_div_scale_f32 v12, vcc_lo, v7, v8, v7
	s_delay_alu instid0(VALU_DEP_2) | instskip(SKIP_2) | instid1(VALU_DEP_1)
	v_rcp_f32_e32 v10, v9
	s_waitcnt_depctr 0xfff
	v_fma_f32 v11, -v9, v10, 1.0
	v_fmac_f32_e32 v10, v11, v10
	s_delay_alu instid0(VALU_DEP_1) | instskip(NEXT) | instid1(VALU_DEP_1)
	v_mul_f32_e32 v11, v12, v10
	v_fma_f32 v13, -v9, v11, v12
	s_delay_alu instid0(VALU_DEP_1) | instskip(NEXT) | instid1(VALU_DEP_1)
	v_fmac_f32_e32 v11, v13, v10
	v_fma_f32 v9, -v9, v11, v12
	s_delay_alu instid0(VALU_DEP_1) | instskip(NEXT) | instid1(VALU_DEP_1)
	v_div_fmas_f32 v9, v9, v10, v11
	v_div_fixup_f32 v7, v9, v8, v7
	s_delay_alu instid0(VALU_DEP_1) | instskip(NEXT) | instid1(VALU_DEP_1)
	v_fma_f32 v7, v7, v7, 1.0
	v_mul_f32_e32 v9, 0x4f800000, v7
	v_cmp_gt_f32_e32 vcc_lo, 0xf800000, v7
	s_delay_alu instid0(VALU_DEP_2) | instskip(NEXT) | instid1(VALU_DEP_1)
	v_cndmask_b32_e32 v7, v7, v9, vcc_lo
	v_sqrt_f32_e32 v9, v7
	s_waitcnt_depctr 0xfff
	v_add_nc_u32_e32 v10, -1, v9
	v_add_nc_u32_e32 v11, 1, v9
	s_delay_alu instid0(VALU_DEP_2) | instskip(NEXT) | instid1(VALU_DEP_2)
	v_fma_f32 v12, -v10, v9, v7
	v_fma_f32 v13, -v11, v9, v7
	s_delay_alu instid0(VALU_DEP_2) | instskip(NEXT) | instid1(VALU_DEP_1)
	v_cmp_ge_f32_e64 s2, 0, v12
	v_cndmask_b32_e64 v9, v9, v10, s2
	s_delay_alu instid0(VALU_DEP_3) | instskip(NEXT) | instid1(VALU_DEP_1)
	v_cmp_lt_f32_e64 s2, 0, v13
	v_cndmask_b32_e64 v9, v9, v11, s2
	s_delay_alu instid0(VALU_DEP_1) | instskip(NEXT) | instid1(VALU_DEP_1)
	v_mul_f32_e32 v10, 0x37800000, v9
	v_cndmask_b32_e32 v9, v9, v10, vcc_lo
	v_cmp_class_f32_e64 vcc_lo, v7, 0x260
	s_delay_alu instid0(VALU_DEP_2) | instskip(NEXT) | instid1(VALU_DEP_1)
	v_cndmask_b32_e32 v7, v9, v7, vcc_lo
	v_mul_f32_e32 v9, v8, v7
.LBB37_38:                              ;   in Loop: Header=BB37_4 Depth=1
	s_or_b32 exec_lo, exec_lo, s31
                                        ; implicit-def: $vgpr7
                                        ; implicit-def: $vgpr8
.LBB37_39:                              ;   in Loop: Header=BB37_4 Depth=1
	s_and_not1_saveexec_b32 s30, s30
	s_cbranch_execz .LBB37_41
; %bb.40:                               ;   in Loop: Header=BB37_4 Depth=1
	v_div_scale_f32 v9, null, v7, v7, v8
	v_div_scale_f32 v12, vcc_lo, v8, v7, v8
	s_delay_alu instid0(VALU_DEP_2) | instskip(SKIP_2) | instid1(VALU_DEP_1)
	v_rcp_f32_e32 v10, v9
	s_waitcnt_depctr 0xfff
	v_fma_f32 v11, -v9, v10, 1.0
	v_fmac_f32_e32 v10, v11, v10
	s_delay_alu instid0(VALU_DEP_1) | instskip(NEXT) | instid1(VALU_DEP_1)
	v_mul_f32_e32 v11, v12, v10
	v_fma_f32 v13, -v9, v11, v12
	s_delay_alu instid0(VALU_DEP_1) | instskip(NEXT) | instid1(VALU_DEP_1)
	v_fmac_f32_e32 v11, v13, v10
	v_fma_f32 v9, -v9, v11, v12
	s_delay_alu instid0(VALU_DEP_1) | instskip(NEXT) | instid1(VALU_DEP_1)
	v_div_fmas_f32 v9, v9, v10, v11
	v_div_fixup_f32 v8, v9, v7, v8
	s_delay_alu instid0(VALU_DEP_1) | instskip(NEXT) | instid1(VALU_DEP_1)
	v_fma_f32 v8, v8, v8, 1.0
	v_mul_f32_e32 v9, 0x4f800000, v8
	v_cmp_gt_f32_e32 vcc_lo, 0xf800000, v8
	s_delay_alu instid0(VALU_DEP_2) | instskip(NEXT) | instid1(VALU_DEP_1)
	v_cndmask_b32_e32 v8, v8, v9, vcc_lo
	v_sqrt_f32_e32 v9, v8
	s_waitcnt_depctr 0xfff
	v_add_nc_u32_e32 v10, -1, v9
	v_add_nc_u32_e32 v11, 1, v9
	s_delay_alu instid0(VALU_DEP_2) | instskip(NEXT) | instid1(VALU_DEP_2)
	v_fma_f32 v12, -v10, v9, v8
	v_fma_f32 v13, -v11, v9, v8
	s_delay_alu instid0(VALU_DEP_2) | instskip(NEXT) | instid1(VALU_DEP_1)
	v_cmp_ge_f32_e64 s2, 0, v12
	v_cndmask_b32_e64 v9, v9, v10, s2
	s_delay_alu instid0(VALU_DEP_3) | instskip(NEXT) | instid1(VALU_DEP_1)
	v_cmp_lt_f32_e64 s2, 0, v13
	v_cndmask_b32_e64 v9, v9, v11, s2
	s_delay_alu instid0(VALU_DEP_1) | instskip(NEXT) | instid1(VALU_DEP_1)
	v_mul_f32_e32 v10, 0x37800000, v9
	v_cndmask_b32_e32 v9, v9, v10, vcc_lo
	v_cmp_class_f32_e64 vcc_lo, v8, 0x260
	s_delay_alu instid0(VALU_DEP_2) | instskip(NEXT) | instid1(VALU_DEP_1)
	v_cndmask_b32_e32 v8, v9, v8, vcc_lo
	v_mul_f32_e32 v9, v7, v8
.LBB37_41:                              ;   in Loop: Header=BB37_4 Depth=1
	s_or_b32 exec_lo, exec_lo, s30
	v_cmp_nlg_f32_e64 s30, 0x7f800000, |v6|
	v_cmp_gt_f32_e32 vcc_lo, v16, v6
	s_delay_alu instid0(VALU_DEP_3) | instskip(NEXT) | instid1(VALU_DEP_1)
	v_cmp_class_f32_e64 s2, v9, 0x1f8
	s_and_saveexec_b32 s31, s2
	s_cbranch_execz .LBB37_2
; %bb.42:                               ;   in Loop: Header=BB37_4 Depth=1
	v_add_co_u32 v2, s2, s10, v2
	s_delay_alu instid0(VALU_DEP_1)
	v_add_co_ci_u32_e64 v3, s2, s11, v3, s2
	global_store_b64 v[2:3], v[4:5], off
	s_branch .LBB37_2
.LBB37_43:
	s_or_b32 exec_lo, exec_lo, s26
	v_mbcnt_lo_u32_b32 v1, -1, 0
	s_mov_b32 s2, exec_lo
	s_delay_alu instid0(VALU_DEP_1) | instskip(SKIP_2) | instid1(VALU_DEP_3)
	v_or_b32_e32 v2, 32, v1
	v_xor_b32_e32 v3, 16, v1
	v_xor_b32_e32 v4, 8, v1
	v_cmp_gt_i32_e32 vcc_lo, 32, v2
	v_cndmask_b32_e32 v2, v1, v2, vcc_lo
	s_delay_alu instid0(VALU_DEP_4) | instskip(SKIP_1) | instid1(VALU_DEP_1)
	v_cmp_gt_i32_e32 vcc_lo, 32, v3
	v_cndmask_b32_e32 v3, v1, v3, vcc_lo
	v_lshlrev_b32_e32 v3, 2, v3
	s_delay_alu instid0(VALU_DEP_4)
	v_lshlrev_b32_e32 v2, 2, v2
	ds_bpermute_b32 v2, v2, v16
	s_waitcnt lgkmcnt(0)
	v_cmp_lt_f32_e32 vcc_lo, v16, v2
	v_cndmask_b32_e32 v2, v16, v2, vcc_lo
	v_cmp_gt_i32_e32 vcc_lo, 32, v4
	ds_bpermute_b32 v3, v3, v2
	v_cndmask_b32_e32 v4, v1, v4, vcc_lo
	s_delay_alu instid0(VALU_DEP_1)
	v_lshlrev_b32_e32 v4, 2, v4
	s_waitcnt lgkmcnt(0)
	v_cmp_lt_f32_e32 vcc_lo, v2, v3
	v_cndmask_b32_e32 v2, v2, v3, vcc_lo
	ds_bpermute_b32 v3, v4, v2
	v_xor_b32_e32 v4, 4, v1
	s_delay_alu instid0(VALU_DEP_1) | instskip(SKIP_1) | instid1(VALU_DEP_1)
	v_cmp_gt_i32_e32 vcc_lo, 32, v4
	v_cndmask_b32_e32 v4, v1, v4, vcc_lo
	v_lshlrev_b32_e32 v4, 2, v4
	s_waitcnt lgkmcnt(0)
	v_cmp_lt_f32_e32 vcc_lo, v2, v3
	v_cndmask_b32_e32 v2, v2, v3, vcc_lo
	ds_bpermute_b32 v3, v4, v2
	v_xor_b32_e32 v4, 2, v1
	s_delay_alu instid0(VALU_DEP_1) | instskip(SKIP_1) | instid1(VALU_DEP_1)
	v_cmp_gt_i32_e32 vcc_lo, 32, v4
	v_cndmask_b32_e32 v4, v1, v4, vcc_lo
	v_lshlrev_b32_e32 v4, 2, v4
	s_waitcnt lgkmcnt(0)
	v_cmp_lt_f32_e32 vcc_lo, v2, v3
	v_cndmask_b32_e32 v2, v2, v3, vcc_lo
	ds_bpermute_b32 v3, v4, v2
	v_xor_b32_e32 v4, 1, v1
	s_delay_alu instid0(VALU_DEP_1)
	v_cmp_gt_i32_e32 vcc_lo, 32, v4
	v_cndmask_b32_e32 v4, v1, v4, vcc_lo
	s_waitcnt lgkmcnt(0)
	v_cmp_lt_f32_e32 vcc_lo, v2, v3
	v_cndmask_b32_e32 v1, v2, v3, vcc_lo
	v_and_b32_e32 v3, 63, v0
	v_lshlrev_b32_e32 v2, 2, v4
	ds_bpermute_b32 v2, v2, v1
	v_cmpx_eq_u32_e32 63, v3
	s_cbranch_execz .LBB37_45
; %bb.44:
	v_lshrrev_b32_e32 v3, 4, v0
	s_waitcnt lgkmcnt(0)
	v_cmp_lt_f32_e32 vcc_lo, v1, v2
	s_delay_alu instid0(VALU_DEP_2)
	v_and_b32_e32 v3, 60, v3
	v_cndmask_b32_e32 v1, v1, v2, vcc_lo
	ds_store_b32 v3, v1
.LBB37_45:
	s_or_b32 exec_lo, exec_lo, s2
	v_lshlrev_b32_e32 v1, 2, v0
	s_mov_b32 s2, exec_lo
	s_waitcnt lgkmcnt(0)
	s_waitcnt_vscnt null, 0x0
	s_barrier
	buffer_gl0_inv
	v_cmpx_gt_u32_e32 8, v0
	s_cbranch_execz .LBB37_47
; %bb.46:
	ds_load_2addr_b32 v[2:3], v1 offset1:8
	s_waitcnt lgkmcnt(0)
	v_cmp_lt_f32_e32 vcc_lo, v2, v3
	v_cndmask_b32_e32 v2, v2, v3, vcc_lo
	ds_store_b32 v1, v2
.LBB37_47:
	s_or_b32 exec_lo, exec_lo, s2
	s_delay_alu instid0(SALU_CYCLE_1)
	s_mov_b32 s2, exec_lo
	s_waitcnt lgkmcnt(0)
	s_barrier
	buffer_gl0_inv
	v_cmpx_gt_u32_e32 4, v0
	s_cbranch_execz .LBB37_49
; %bb.48:
	ds_load_2addr_b32 v[2:3], v1 offset1:4
	s_waitcnt lgkmcnt(0)
	v_cmp_lt_f32_e32 vcc_lo, v2, v3
	v_cndmask_b32_e32 v2, v2, v3, vcc_lo
	ds_store_b32 v1, v2
.LBB37_49:
	s_or_b32 exec_lo, exec_lo, s2
	s_delay_alu instid0(SALU_CYCLE_1)
	s_mov_b32 s2, exec_lo
	s_waitcnt lgkmcnt(0)
	s_barrier
	buffer_gl0_inv
	v_cmpx_gt_u32_e32 2, v0
	s_cbranch_execz .LBB37_51
; %bb.50:
	ds_load_2addr_b32 v[2:3], v1 offset1:2
	s_waitcnt lgkmcnt(0)
	v_cmp_lt_f32_e32 vcc_lo, v2, v3
	v_cndmask_b32_e32 v2, v2, v3, vcc_lo
	ds_store_b32 v1, v2
.LBB37_51:
	s_or_b32 exec_lo, exec_lo, s2
	v_cmp_eq_u32_e32 vcc_lo, 0, v0
	s_waitcnt lgkmcnt(0)
	s_barrier
	buffer_gl0_inv
	s_and_saveexec_b32 s3, vcc_lo
	s_cbranch_execz .LBB37_53
; %bb.52:
	v_mov_b32_e32 v2, 0
	ds_load_b64 v[0:1], v2
	s_waitcnt lgkmcnt(0)
	v_cmp_lt_f32_e64 s2, v0, v1
	s_delay_alu instid0(VALU_DEP_1)
	v_cndmask_b32_e64 v0, v0, v1, s2
	ds_store_b32 v2, v0
.LBB37_53:
	s_or_b32 exec_lo, exec_lo, s3
	s_waitcnt lgkmcnt(0)
	s_barrier
	buffer_gl0_inv
	s_and_saveexec_b32 s2, vcc_lo
	s_cbranch_execz .LBB37_58
; %bb.54:
	s_load_b128 s[4:7], s[0:1], 0x68
	v_mov_b32_e32 v2, 0
	s_mov_b32 s1, 0
                                        ; implicit-def: $sgpr2
                                        ; implicit-def: $sgpr3
	ds_load_b32 v0, v2
	s_waitcnt lgkmcnt(0)
	s_load_b32 s0, s[6:7], 0x0
	s_waitcnt lgkmcnt(0)
	v_div_scale_f32 v3, null, s0, s0, v0
	v_div_scale_f32 v6, vcc_lo, v0, s0, v0
	s_delay_alu instid0(VALU_DEP_2) | instskip(SKIP_2) | instid1(VALU_DEP_1)
	v_rcp_f32_e32 v4, v3
	s_waitcnt_depctr 0xfff
	v_fma_f32 v5, -v3, v4, 1.0
	v_fmac_f32_e32 v4, v5, v4
	s_delay_alu instid0(VALU_DEP_1) | instskip(SKIP_2) | instid1(VALU_DEP_1)
	v_mul_f32_e32 v5, v6, v4
	global_load_b32 v1, v2, s[4:5] glc
	v_fma_f32 v7, -v3, v5, v6
	v_fmac_f32_e32 v5, v7, v4
	s_delay_alu instid0(VALU_DEP_1) | instskip(NEXT) | instid1(VALU_DEP_1)
	v_fma_f32 v3, -v3, v5, v6
	v_div_fmas_f32 v3, v3, v4, v5
	s_delay_alu instid0(VALU_DEP_1) | instskip(NEXT) | instid1(VALU_DEP_1)
	v_div_fixup_f32 v0, v3, s0, v0
	v_cmp_eq_f32_e32 vcc_lo, 0, v0
	s_waitcnt vmcnt(0)
	v_cmp_eq_u32_e64 s6, 0x80000000, v1
	s_set_inst_prefetch_distance 0x1
	s_branch .LBB37_56
	.p2align	6
.LBB37_55:                              ;   in Loop: Header=BB37_56 Depth=1
	s_or_b32 exec_lo, exec_lo, s7
	s_delay_alu instid0(SALU_CYCLE_1) | instskip(NEXT) | instid1(SALU_CYCLE_1)
	s_and_b32 s0, exec_lo, s2
	s_or_b32 s1, s0, s1
	s_and_not1_b32 s0, s6, exec_lo
	s_and_b32 s6, s3, exec_lo
	s_delay_alu instid0(SALU_CYCLE_1)
	s_or_b32 s6, s0, s6
	s_and_not1_b32 exec_lo, exec_lo, s1
	s_cbranch_execz .LBB37_58
.LBB37_56:                              ; =>This Inner Loop Header: Depth=1
	v_cmp_lt_f32_e64 s0, v1, v0
	s_delay_alu instid0(VALU_DEP_2) | instskip(SKIP_2) | instid1(VALU_DEP_1)
	s_and_b32 s7, vcc_lo, s6
	s_and_not1_b32 s3, s3, exec_lo
	s_or_b32 s2, s2, exec_lo
	s_or_b32 s0, s0, s7
	s_delay_alu instid0(SALU_CYCLE_1)
	s_and_saveexec_b32 s7, s0
	s_cbranch_execz .LBB37_55
; %bb.57:                               ;   in Loop: Header=BB37_56 Depth=1
	global_atomic_cmpswap_b32 v3, v2, v[0:1], s[4:5] glc
	s_and_not1_b32 s3, s3, exec_lo
	s_and_not1_b32 s2, s2, exec_lo
	s_waitcnt vmcnt(0)
	v_cmp_eq_u32_e64 s0, v3, v1
	s_delay_alu instid0(VALU_DEP_1) | instskip(SKIP_1) | instid1(SALU_CYCLE_1)
	v_cndmask_b32_e64 v1, v3, v1, s0
	s_and_b32 s0, s0, exec_lo
	s_or_b32 s2, s2, s0
	s_delay_alu instid0(VALU_DEP_1) | instskip(SKIP_1) | instid1(VALU_DEP_2)
	v_cmp_class_f32_e64 s6, v1, 32
	v_mov_b32_e32 v1, v3
	s_and_b32 s6, s6, exec_lo
	s_delay_alu instid0(SALU_CYCLE_1)
	s_or_b32 s3, s3, s6
                                        ; implicit-def: $sgpr6
	s_branch .LBB37_55
.LBB37_58:
	s_set_inst_prefetch_distance 0x2
	s_endpgm
	.section	.rodata,"a",@progbits
	.p2align	6, 0x0
	.amdhsa_kernel _ZN9rocsparseL20kernel_calculate_cooILi1024ELi64ELb1E21rocsparse_complex_numIfEiiEEvT4_T3_PKS3_S6_PKT2_21rocsparse_index_base_PKS4_SC_S6_SC_SC_S6_SC_PS7_PNS_15floating_traitsIS7_E6data_tEPKSG_
		.amdhsa_group_segment_fixed_size 64
		.amdhsa_private_segment_fixed_size 0
		.amdhsa_kernarg_size 120
		.amdhsa_user_sgpr_count 15
		.amdhsa_user_sgpr_dispatch_ptr 0
		.amdhsa_user_sgpr_queue_ptr 0
		.amdhsa_user_sgpr_kernarg_segment_ptr 1
		.amdhsa_user_sgpr_dispatch_id 0
		.amdhsa_user_sgpr_private_segment_size 0
		.amdhsa_wavefront_size32 1
		.amdhsa_uses_dynamic_stack 0
		.amdhsa_enable_private_segment 0
		.amdhsa_system_sgpr_workgroup_id_x 1
		.amdhsa_system_sgpr_workgroup_id_y 0
		.amdhsa_system_sgpr_workgroup_id_z 0
		.amdhsa_system_sgpr_workgroup_info 0
		.amdhsa_system_vgpr_workitem_id 0
		.amdhsa_next_free_vgpr 25
		.amdhsa_next_free_sgpr 37
		.amdhsa_reserve_vcc 1
		.amdhsa_float_round_mode_32 0
		.amdhsa_float_round_mode_16_64 0
		.amdhsa_float_denorm_mode_32 3
		.amdhsa_float_denorm_mode_16_64 3
		.amdhsa_dx10_clamp 1
		.amdhsa_ieee_mode 1
		.amdhsa_fp16_overflow 0
		.amdhsa_workgroup_processor_mode 1
		.amdhsa_memory_ordered 1
		.amdhsa_forward_progress 0
		.amdhsa_shared_vgpr_count 0
		.amdhsa_exception_fp_ieee_invalid_op 0
		.amdhsa_exception_fp_denorm_src 0
		.amdhsa_exception_fp_ieee_div_zero 0
		.amdhsa_exception_fp_ieee_overflow 0
		.amdhsa_exception_fp_ieee_underflow 0
		.amdhsa_exception_fp_ieee_inexact 0
		.amdhsa_exception_int_div_zero 0
	.end_amdhsa_kernel
	.section	.text._ZN9rocsparseL20kernel_calculate_cooILi1024ELi64ELb1E21rocsparse_complex_numIfEiiEEvT4_T3_PKS3_S6_PKT2_21rocsparse_index_base_PKS4_SC_S6_SC_SC_S6_SC_PS7_PNS_15floating_traitsIS7_E6data_tEPKSG_,"axG",@progbits,_ZN9rocsparseL20kernel_calculate_cooILi1024ELi64ELb1E21rocsparse_complex_numIfEiiEEvT4_T3_PKS3_S6_PKT2_21rocsparse_index_base_PKS4_SC_S6_SC_SC_S6_SC_PS7_PNS_15floating_traitsIS7_E6data_tEPKSG_,comdat
.Lfunc_end37:
	.size	_ZN9rocsparseL20kernel_calculate_cooILi1024ELi64ELb1E21rocsparse_complex_numIfEiiEEvT4_T3_PKS3_S6_PKT2_21rocsparse_index_base_PKS4_SC_S6_SC_SC_S6_SC_PS7_PNS_15floating_traitsIS7_E6data_tEPKSG_, .Lfunc_end37-_ZN9rocsparseL20kernel_calculate_cooILi1024ELi64ELb1E21rocsparse_complex_numIfEiiEEvT4_T3_PKS3_S6_PKT2_21rocsparse_index_base_PKS4_SC_S6_SC_SC_S6_SC_PS7_PNS_15floating_traitsIS7_E6data_tEPKSG_
                                        ; -- End function
	.section	.AMDGPU.csdata,"",@progbits
; Kernel info:
; codeLenInByte = 3796
; NumSgprs: 39
; NumVgprs: 25
; ScratchSize: 0
; MemoryBound: 0
; FloatMode: 240
; IeeeMode: 1
; LDSByteSize: 64 bytes/workgroup (compile time only)
; SGPRBlocks: 4
; VGPRBlocks: 3
; NumSGPRsForWavesPerEU: 39
; NumVGPRsForWavesPerEU: 25
; Occupancy: 16
; WaveLimiterHint : 1
; COMPUTE_PGM_RSRC2:SCRATCH_EN: 0
; COMPUTE_PGM_RSRC2:USER_SGPR: 15
; COMPUTE_PGM_RSRC2:TRAP_HANDLER: 0
; COMPUTE_PGM_RSRC2:TGID_X_EN: 1
; COMPUTE_PGM_RSRC2:TGID_Y_EN: 0
; COMPUTE_PGM_RSRC2:TGID_Z_EN: 0
; COMPUTE_PGM_RSRC2:TIDIG_COMP_CNT: 0
	.section	.text._ZN9rocsparseL16kernel_calculateILi1024ELi1ELb1E21rocsparse_complex_numIfEiiEEvT4_T3_PKS4_S6_PKS3_PKT2_21rocsparse_index_base_S6_S6_S8_S6_S6_S8_S6_PS9_PNS_15floating_traitsIS9_E6data_tEPKSG_,"axG",@progbits,_ZN9rocsparseL16kernel_calculateILi1024ELi1ELb1E21rocsparse_complex_numIfEiiEEvT4_T3_PKS4_S6_PKS3_PKT2_21rocsparse_index_base_S6_S6_S8_S6_S6_S8_S6_PS9_PNS_15floating_traitsIS9_E6data_tEPKSG_,comdat
	.globl	_ZN9rocsparseL16kernel_calculateILi1024ELi1ELb1E21rocsparse_complex_numIfEiiEEvT4_T3_PKS4_S6_PKS3_PKT2_21rocsparse_index_base_S6_S6_S8_S6_S6_S8_S6_PS9_PNS_15floating_traitsIS9_E6data_tEPKSG_ ; -- Begin function _ZN9rocsparseL16kernel_calculateILi1024ELi1ELb1E21rocsparse_complex_numIfEiiEEvT4_T3_PKS4_S6_PKS3_PKT2_21rocsparse_index_base_S6_S6_S8_S6_S6_S8_S6_PS9_PNS_15floating_traitsIS9_E6data_tEPKSG_
	.p2align	8
	.type	_ZN9rocsparseL16kernel_calculateILi1024ELi1ELb1E21rocsparse_complex_numIfEiiEEvT4_T3_PKS4_S6_PKS3_PKT2_21rocsparse_index_base_S6_S6_S8_S6_S6_S8_S6_PS9_PNS_15floating_traitsIS9_E6data_tEPKSG_,@function
_ZN9rocsparseL16kernel_calculateILi1024ELi1ELb1E21rocsparse_complex_numIfEiiEEvT4_T3_PKS4_S6_PKS3_PKT2_21rocsparse_index_base_S6_S6_S8_S6_S6_S8_S6_PS9_PNS_15floating_traitsIS9_E6data_tEPKSG_: ; @_ZN9rocsparseL16kernel_calculateILi1024ELi1ELb1E21rocsparse_complex_numIfEiiEEvT4_T3_PKS4_S6_PKS3_PKT2_21rocsparse_index_base_S6_S6_S8_S6_S6_S8_S6_PS9_PNS_15floating_traitsIS9_E6data_tEPKSG_
; %bb.0:
	s_load_b32 s2, s[0:1], 0x0
	v_lshl_or_b32 v1, s15, 10, v0
	v_mov_b32_e32 v18, 0
	s_mov_b32 s24, exec_lo
	s_waitcnt lgkmcnt(0)
	s_delay_alu instid0(VALU_DEP_2)
	v_cmpx_gt_i32_e64 s2, v1
	s_cbranch_execz .LBB38_44
; %bb.1:
	s_load_b128 s[4:7], s[0:1], 0x8
	v_ashrrev_i32_e32 v2, 31, v1
	v_mov_b32_e32 v18, 0
	s_mov_b32 s25, exec_lo
	s_delay_alu instid0(VALU_DEP_2) | instskip(SKIP_1) | instid1(VALU_DEP_1)
	v_lshlrev_b64 v[2:3], 2, v[1:2]
	s_waitcnt lgkmcnt(0)
	v_add_co_u32 v4, vcc_lo, s6, v2
	s_delay_alu instid0(VALU_DEP_2)
	v_add_co_ci_u32_e32 v5, vcc_lo, s7, v3, vcc_lo
	v_add_co_u32 v6, vcc_lo, s4, v2
	v_add_co_ci_u32_e32 v7, vcc_lo, s5, v3, vcc_lo
	global_load_b32 v4, v[4:5], off
	global_load_b32 v5, v[6:7], off
	s_waitcnt vmcnt(0)
	v_cmpx_lt_i32_e64 v5, v4
	s_cbranch_execz .LBB38_43
; %bb.2:
	s_load_b256 s[4:11], s[0:1], 0x30
	v_mov_b32_e32 v18, 0
	s_waitcnt lgkmcnt(0)
	v_add_co_u32 v6, vcc_lo, s6, v2
	v_add_co_ci_u32_e32 v7, vcc_lo, s7, v3, vcc_lo
	v_add_co_u32 v2, vcc_lo, s4, v2
	v_add_co_ci_u32_e32 v3, vcc_lo, s5, v3, vcc_lo
	s_mov_b32 s5, 0
	global_load_b32 v6, v[6:7], off
	global_load_b32 v3, v[2:3], off
	s_clause 0x2
	s_load_b32 s4, s[0:1], 0x28
	s_load_b128 s[20:23], s[0:1], 0x18
	s_load_b256 s[12:19], s[0:1], 0x50
	s_waitcnt lgkmcnt(0)
	v_subrev_nc_u32_e32 v19, s4, v4
	v_subrev_nc_u32_e32 v2, s4, v5
	s_waitcnt vmcnt(1)
	v_subrev_nc_u32_e32 v20, s4, v6
	s_waitcnt vmcnt(0)
	v_subrev_nc_u32_e32 v21, s4, v3
	v_cmp_lt_i32_e64 s2, v3, v6
	s_branch .LBB38_4
.LBB38_3:                               ;   in Loop: Header=BB38_4 Depth=1
	s_or_b32 exec_lo, exec_lo, s3
	v_add_nc_u32_e32 v2, 1, v2
	v_cmp_nlg_f32_e64 s26, 0x7f800000, |v7|
	v_cmp_gt_f32_e32 vcc_lo, v18, v7
	s_delay_alu instid0(VALU_DEP_3) | instskip(NEXT) | instid1(VALU_DEP_3)
	v_cmp_ge_i32_e64 s3, v2, v19
	s_or_b32 vcc_lo, s26, vcc_lo
	v_cndmask_b32_e32 v18, v7, v18, vcc_lo
	s_delay_alu instid0(VALU_DEP_2) | instskip(NEXT) | instid1(SALU_CYCLE_1)
	s_or_b32 s5, s3, s5
	s_and_not1_b32 exec_lo, exec_lo, s5
	s_cbranch_execz .LBB38_42
.LBB38_4:                               ; =>This Loop Header: Depth=1
                                        ;     Child Loop BB38_7 Depth 2
                                        ;     Child Loop BB38_15 Depth 2
	;; [unrolled: 1-line block ×3, first 2 shown]
	v_ashrrev_i32_e32 v3, 31, v2
	v_dual_mov_b32 v16, 0 :: v_dual_mov_b32 v17, 0
	s_delay_alu instid0(VALU_DEP_2) | instskip(NEXT) | instid1(VALU_DEP_1)
	v_lshlrev_b64 v[4:5], 2, v[2:3]
	v_add_co_u32 v4, vcc_lo, s20, v4
	s_delay_alu instid0(VALU_DEP_2) | instskip(SKIP_4) | instid1(VALU_DEP_1)
	v_add_co_ci_u32_e32 v5, vcc_lo, s21, v5, vcc_lo
	global_load_b32 v22, v[4:5], off
	v_lshlrev_b64 v[3:4], 3, v[2:3]
	s_waitcnt vmcnt(0)
	v_subrev_nc_u32_e32 v7, s4, v22
	v_ashrrev_i32_e32 v8, 31, v7
	s_delay_alu instid0(VALU_DEP_1) | instskip(NEXT) | instid1(VALU_DEP_1)
	v_lshlrev_b64 v[5:6], 2, v[7:8]
	v_add_co_u32 v8, vcc_lo, s6, v5
	s_delay_alu instid0(VALU_DEP_2)
	v_add_co_ci_u32_e32 v9, vcc_lo, s7, v6, vcc_lo
	v_add_co_u32 v10, vcc_lo, s12, v5
	v_add_co_ci_u32_e32 v11, vcc_lo, s13, v6, vcc_lo
	global_load_b32 v8, v[8:9], off
	v_add_co_u32 v5, vcc_lo, s10, v5
	v_add_co_ci_u32_e32 v6, vcc_lo, s11, v6, vcc_lo
	v_add_co_u32 v12, vcc_lo, s22, v3
	v_add_co_ci_u32_e32 v13, vcc_lo, s23, v4, vcc_lo
	global_load_b32 v10, v[10:11], off
	global_load_b32 v11, v[5:6], off
	s_waitcnt vmcnt(2)
	v_subrev_nc_u32_e32 v8, s4, v8
	s_delay_alu instid0(VALU_DEP_1) | instskip(SKIP_2) | instid1(VALU_DEP_2)
	v_ashrrev_i32_e32 v9, 31, v8
	s_waitcnt vmcnt(1)
	v_subrev_nc_u32_e32 v25, s4, v10
	v_lshlrev_b64 v[8:9], 3, v[8:9]
	s_delay_alu instid0(VALU_DEP_1) | instskip(NEXT) | instid1(VALU_DEP_2)
	v_add_co_u32 v5, vcc_lo, s18, v8
	v_add_co_ci_u32_e32 v6, vcc_lo, s19, v9, vcc_lo
	s_waitcnt vmcnt(0)
	v_cmp_lt_i32_e32 vcc_lo, v11, v10
	global_load_b64 v[14:15], v[12:13], off
	global_load_b64 v[8:9], v[5:6], off
	v_subrev_nc_u32_e32 v12, s4, v11
	v_mov_b32_e32 v10, v21
	s_and_b32 s3, s2, vcc_lo
	s_delay_alu instid0(SALU_CYCLE_1)
	s_and_saveexec_b32 s26, s3
	s_cbranch_execz .LBB38_10
; %bb.5:                                ;   in Loop: Header=BB38_4 Depth=1
	v_dual_mov_b32 v16, 0 :: v_dual_mov_b32 v17, 0
	v_mov_b32_e32 v10, v21
	s_mov_b32 s27, 0
	s_branch .LBB38_7
.LBB38_6:                               ;   in Loop: Header=BB38_7 Depth=2
	s_or_b32 exec_lo, exec_lo, s3
	v_cmp_le_i32_e32 vcc_lo, v13, v23
	v_add_co_ci_u32_e32 v10, vcc_lo, 0, v10, vcc_lo
	v_cmp_ge_i32_e32 vcc_lo, v13, v23
	v_add_co_ci_u32_e32 v12, vcc_lo, 0, v12, vcc_lo
	s_delay_alu instid0(VALU_DEP_3) | instskip(NEXT) | instid1(VALU_DEP_2)
	v_cmp_ge_i32_e32 vcc_lo, v10, v20
	v_cmp_ge_i32_e64 s3, v12, v25
	s_delay_alu instid0(VALU_DEP_1) | instskip(NEXT) | instid1(SALU_CYCLE_1)
	s_or_b32 s3, vcc_lo, s3
	s_and_b32 s3, exec_lo, s3
	s_delay_alu instid0(SALU_CYCLE_1) | instskip(NEXT) | instid1(SALU_CYCLE_1)
	s_or_b32 s27, s3, s27
	s_and_not1_b32 exec_lo, exec_lo, s27
	s_cbranch_execz .LBB38_9
.LBB38_7:                               ;   Parent Loop BB38_4 Depth=1
                                        ; =>  This Inner Loop Header: Depth=2
	s_delay_alu instid0(VALU_DEP_1) | instskip(SKIP_2) | instid1(VALU_DEP_2)
	v_ashrrev_i32_e32 v11, 31, v10
	v_ashrrev_i32_e32 v13, 31, v12
	s_mov_b32 s3, exec_lo
	v_lshlrev_b64 v[23:24], 2, v[10:11]
	s_delay_alu instid0(VALU_DEP_2) | instskip(NEXT) | instid1(VALU_DEP_2)
	v_lshlrev_b64 v[5:6], 2, v[12:13]
	v_add_co_u32 v23, vcc_lo, s8, v23
	s_delay_alu instid0(VALU_DEP_3) | instskip(NEXT) | instid1(VALU_DEP_3)
	v_add_co_ci_u32_e32 v24, vcc_lo, s9, v24, vcc_lo
	v_add_co_u32 v26, vcc_lo, s14, v5
	s_delay_alu instid0(VALU_DEP_4)
	v_add_co_ci_u32_e32 v27, vcc_lo, s15, v6, vcc_lo
	global_load_b32 v13, v[23:24], off
	global_load_b32 v23, v[26:27], off
	s_waitcnt vmcnt(0)
	v_cmpx_eq_u32_e64 v13, v23
	s_cbranch_execz .LBB38_6
; %bb.8:                                ;   in Loop: Header=BB38_7 Depth=2
	v_add_co_u32 v5, vcc_lo, s16, v5
	v_add_co_ci_u32_e32 v6, vcc_lo, s17, v6, vcc_lo
	v_lshlrev_b64 v[26:27], 3, v[10:11]
	global_load_b32 v5, v[5:6], off
	v_add_co_u32 v26, vcc_lo, s18, v26
	v_add_co_ci_u32_e32 v27, vcc_lo, s19, v27, vcc_lo
	s_waitcnt vmcnt(0)
	v_ashrrev_i32_e32 v6, 31, v5
	s_delay_alu instid0(VALU_DEP_1) | instskip(NEXT) | instid1(VALU_DEP_1)
	v_lshlrev_b64 v[5:6], 3, v[5:6]
	v_add_co_u32 v5, vcc_lo, s18, v5
	s_delay_alu instid0(VALU_DEP_2)
	v_add_co_ci_u32_e32 v6, vcc_lo, s19, v6, vcc_lo
	s_clause 0x1
	global_load_b64 v[26:27], v[26:27], off
	global_load_b64 v[5:6], v[5:6], off
	s_waitcnt vmcnt(0)
	v_fmac_f32_e32 v16, v26, v5
	v_fmac_f32_e32 v17, v27, v5
	s_delay_alu instid0(VALU_DEP_2) | instskip(NEXT) | instid1(VALU_DEP_2)
	v_fma_f32 v16, -v27, v6, v16
	v_fmac_f32_e32 v17, v26, v6
	s_branch .LBB38_6
.LBB38_9:                               ;   in Loop: Header=BB38_4 Depth=1
	s_or_b32 exec_lo, exec_lo, s27
.LBB38_10:                              ;   in Loop: Header=BB38_4 Depth=1
	s_delay_alu instid0(SALU_CYCLE_1)
	s_or_b32 exec_lo, exec_lo, s26
	s_waitcnt vmcnt(1)
	v_dual_sub_f32 v5, v14, v16 :: v_dual_sub_f32 v6, v15, v17
	s_mov_b32 s3, exec_lo
	v_cmpx_gt_i32_e64 v1, v7
	s_cbranch_execz .LBB38_12
; %bb.11:                               ;   in Loop: Header=BB38_4 Depth=1
	s_waitcnt vmcnt(0)
	v_mul_f32_e32 v11, v9, v9
	s_delay_alu instid0(VALU_DEP_1) | instskip(NEXT) | instid1(VALU_DEP_1)
	v_fmac_f32_e32 v11, v8, v8
	v_div_scale_f32 v13, null, v11, v11, 1.0
	v_div_scale_f32 v26, vcc_lo, 1.0, v11, 1.0
	s_delay_alu instid0(VALU_DEP_2) | instskip(SKIP_2) | instid1(VALU_DEP_1)
	v_rcp_f32_e32 v23, v13
	s_waitcnt_depctr 0xfff
	v_fma_f32 v24, -v13, v23, 1.0
	v_fmac_f32_e32 v23, v24, v23
	s_delay_alu instid0(VALU_DEP_1) | instskip(NEXT) | instid1(VALU_DEP_1)
	v_mul_f32_e32 v24, v26, v23
	v_fma_f32 v27, -v13, v24, v26
	s_delay_alu instid0(VALU_DEP_1) | instskip(NEXT) | instid1(VALU_DEP_1)
	v_fmac_f32_e32 v24, v27, v23
	v_fma_f32 v13, -v13, v24, v26
	s_delay_alu instid0(VALU_DEP_1) | instskip(SKIP_1) | instid1(VALU_DEP_2)
	v_div_fmas_f32 v13, v13, v23, v24
	v_mul_f32_e64 v24, v9, -v5
	v_div_fixup_f32 v11, v13, v11, 1.0
	s_delay_alu instid0(VALU_DEP_2) | instskip(NEXT) | instid1(VALU_DEP_1)
	v_dual_fmac_f32 v24, v6, v8 :: v_dual_mul_f32 v23, v9, v6
	v_mul_f32_e32 v6, v11, v24
	s_delay_alu instid0(VALU_DEP_2) | instskip(NEXT) | instid1(VALU_DEP_1)
	v_fmac_f32_e32 v23, v5, v8
	v_mul_f32_e32 v5, v11, v23
.LBB38_12:                              ;   in Loop: Header=BB38_4 Depth=1
	s_or_b32 exec_lo, exec_lo, s3
	v_dual_sub_f32 v23, v16, v14 :: v_dual_sub_f32 v24, v17, v15
	s_mov_b32 s26, exec_lo
	v_cmpx_lt_i32_e64 v12, v25
	s_cbranch_execz .LBB38_20
; %bb.13:                               ;   in Loop: Header=BB38_4 Depth=1
	v_ashrrev_i32_e32 v13, 31, v12
	s_mov_b32 s28, 0
                                        ; implicit-def: $sgpr27
                                        ; implicit-def: $sgpr30
                                        ; implicit-def: $sgpr29
	s_delay_alu instid0(VALU_DEP_1) | instskip(NEXT) | instid1(VALU_DEP_1)
	v_lshlrev_b64 v[14:15], 2, v[12:13]
	v_add_co_u32 v14, vcc_lo, s14, v14
	s_delay_alu instid0(VALU_DEP_2)
	v_add_co_ci_u32_e32 v15, vcc_lo, s15, v15, vcc_lo
	s_set_inst_prefetch_distance 0x1
	s_branch .LBB38_15
	.p2align	6
.LBB38_14:                              ;   in Loop: Header=BB38_15 Depth=2
	s_or_b32 exec_lo, exec_lo, s31
	s_delay_alu instid0(SALU_CYCLE_1) | instskip(NEXT) | instid1(SALU_CYCLE_1)
	s_and_b32 s3, exec_lo, s30
	s_or_b32 s28, s3, s28
	s_and_not1_b32 s3, s27, exec_lo
	s_and_b32 s27, s29, exec_lo
	s_delay_alu instid0(SALU_CYCLE_1)
	s_or_b32 s27, s3, s27
	s_and_not1_b32 exec_lo, exec_lo, s28
	s_cbranch_execz .LBB38_17
.LBB38_15:                              ;   Parent Loop BB38_4 Depth=1
                                        ; =>  This Inner Loop Header: Depth=2
	global_load_b32 v11, v[14:15], off
	v_dual_mov_b32 v17, v13 :: v_dual_mov_b32 v16, v12
	s_or_b32 s29, s29, exec_lo
	s_or_b32 s30, s30, exec_lo
	s_mov_b32 s31, exec_lo
                                        ; implicit-def: $vgpr12_vgpr13
	s_waitcnt vmcnt(0)
	v_subrev_nc_u32_e32 v11, s4, v11
	s_delay_alu instid0(VALU_DEP_1)
	v_cmpx_ne_u32_e64 v11, v1
	s_cbranch_execz .LBB38_14
; %bb.16:                               ;   in Loop: Header=BB38_15 Depth=2
	v_add_co_u32 v12, vcc_lo, v16, 1
	v_add_co_ci_u32_e32 v13, vcc_lo, 0, v17, vcc_lo
	v_add_co_u32 v14, s3, v14, 4
	s_delay_alu instid0(VALU_DEP_3) | instskip(SKIP_4) | instid1(SALU_CYCLE_1)
	v_cmp_ge_i32_e32 vcc_lo, v12, v25
	v_add_co_ci_u32_e64 v15, s3, 0, v15, s3
	s_and_not1_b32 s3, s30, exec_lo
	s_and_not1_b32 s29, s29, exec_lo
	s_and_b32 s30, vcc_lo, exec_lo
	s_or_b32 s30, s3, s30
	s_branch .LBB38_14
.LBB38_17:                              ;   in Loop: Header=BB38_4 Depth=1
	s_set_inst_prefetch_distance 0x2
	s_or_b32 exec_lo, exec_lo, s28
	s_and_saveexec_b32 s3, s27
	s_delay_alu instid0(SALU_CYCLE_1)
	s_xor_b32 s3, exec_lo, s3
	s_cbranch_execz .LBB38_19
; %bb.18:                               ;   in Loop: Header=BB38_4 Depth=1
	v_lshlrev_b64 v[11:12], 2, v[16:17]
	s_delay_alu instid0(VALU_DEP_1) | instskip(NEXT) | instid1(VALU_DEP_2)
	v_add_co_u32 v11, vcc_lo, s16, v11
	v_add_co_ci_u32_e32 v12, vcc_lo, s17, v12, vcc_lo
	global_load_b32 v11, v[11:12], off
	s_waitcnt vmcnt(0)
	v_ashrrev_i32_e32 v12, 31, v11
	s_delay_alu instid0(VALU_DEP_1) | instskip(NEXT) | instid1(VALU_DEP_1)
	v_lshlrev_b64 v[11:12], 3, v[11:12]
	v_add_co_u32 v11, vcc_lo, s18, v11
	s_delay_alu instid0(VALU_DEP_2)
	v_add_co_ci_u32_e32 v12, vcc_lo, s19, v12, vcc_lo
	global_load_b64 v[11:12], v[11:12], off
	s_waitcnt vmcnt(0)
	v_dual_add_f32 v23, v23, v11 :: v_dual_add_f32 v24, v24, v12
.LBB38_19:                              ;   in Loop: Header=BB38_4 Depth=1
	s_or_b32 exec_lo, exec_lo, s3
.LBB38_20:                              ;   in Loop: Header=BB38_4 Depth=1
	s_delay_alu instid0(SALU_CYCLE_1) | instskip(NEXT) | instid1(SALU_CYCLE_1)
	s_or_b32 exec_lo, exec_lo, s26
	s_mov_b32 s26, exec_lo
	v_cmpx_lt_i32_e64 v10, v20
	s_cbranch_execz .LBB38_28
; %bb.21:                               ;   in Loop: Header=BB38_4 Depth=1
	v_ashrrev_i32_e32 v11, 31, v10
	s_mov_b32 s28, 0
                                        ; implicit-def: $sgpr27
                                        ; implicit-def: $sgpr30
                                        ; implicit-def: $sgpr29
	s_delay_alu instid0(VALU_DEP_1) | instskip(NEXT) | instid1(VALU_DEP_1)
	v_lshlrev_b64 v[12:13], 2, v[10:11]
	v_add_co_u32 v12, vcc_lo, s8, v12
	s_delay_alu instid0(VALU_DEP_2)
	v_add_co_ci_u32_e32 v13, vcc_lo, s9, v13, vcc_lo
	s_set_inst_prefetch_distance 0x1
	s_branch .LBB38_23
	.p2align	6
.LBB38_22:                              ;   in Loop: Header=BB38_23 Depth=2
	s_or_b32 exec_lo, exec_lo, s31
	s_delay_alu instid0(SALU_CYCLE_1) | instskip(NEXT) | instid1(SALU_CYCLE_1)
	s_and_b32 s3, exec_lo, s30
	s_or_b32 s28, s3, s28
	s_and_not1_b32 s3, s27, exec_lo
	s_and_b32 s27, s29, exec_lo
	s_delay_alu instid0(SALU_CYCLE_1)
	s_or_b32 s27, s3, s27
	s_and_not1_b32 exec_lo, exec_lo, s28
	s_cbranch_execz .LBB38_25
.LBB38_23:                              ;   Parent Loop BB38_4 Depth=1
                                        ; =>  This Inner Loop Header: Depth=2
	global_load_b32 v16, v[12:13], off
	v_dual_mov_b32 v15, v11 :: v_dual_mov_b32 v14, v10
	s_or_b32 s29, s29, exec_lo
	s_or_b32 s30, s30, exec_lo
	s_mov_b32 s31, exec_lo
                                        ; implicit-def: $vgpr10_vgpr11
	s_waitcnt vmcnt(0)
	v_cmpx_ne_u32_e64 v16, v22
	s_cbranch_execz .LBB38_22
; %bb.24:                               ;   in Loop: Header=BB38_23 Depth=2
	v_add_co_u32 v10, vcc_lo, v14, 1
	v_add_co_ci_u32_e32 v11, vcc_lo, 0, v15, vcc_lo
	v_add_co_u32 v12, s3, v12, 4
	s_delay_alu instid0(VALU_DEP_3) | instskip(SKIP_4) | instid1(SALU_CYCLE_1)
	v_cmp_ge_i32_e32 vcc_lo, v10, v20
	v_add_co_ci_u32_e64 v13, s3, 0, v13, s3
	s_and_not1_b32 s3, s30, exec_lo
	s_and_not1_b32 s29, s29, exec_lo
	s_and_b32 s30, vcc_lo, exec_lo
	s_or_b32 s30, s3, s30
	s_branch .LBB38_22
.LBB38_25:                              ;   in Loop: Header=BB38_4 Depth=1
	s_set_inst_prefetch_distance 0x2
	s_or_b32 exec_lo, exec_lo, s28
	s_and_saveexec_b32 s3, s27
	s_delay_alu instid0(SALU_CYCLE_1)
	s_xor_b32 s3, exec_lo, s3
	s_cbranch_execz .LBB38_27
; %bb.26:                               ;   in Loop: Header=BB38_4 Depth=1
	v_lshlrev_b64 v[10:11], 3, v[14:15]
	s_delay_alu instid0(VALU_DEP_1) | instskip(NEXT) | instid1(VALU_DEP_2)
	v_add_co_u32 v10, vcc_lo, s18, v10
	v_add_co_ci_u32_e32 v11, vcc_lo, s19, v11, vcc_lo
	global_load_b64 v[10:11], v[10:11], off
	s_waitcnt vmcnt(0)
	v_fmac_f32_e32 v23, v10, v8
	v_fmac_f32_e32 v24, v11, v8
	s_delay_alu instid0(VALU_DEP_2) | instskip(NEXT) | instid1(VALU_DEP_2)
	v_fma_f32 v23, -v11, v9, v23
	v_fmac_f32_e32 v24, v10, v9
.LBB38_27:                              ;   in Loop: Header=BB38_4 Depth=1
	s_or_b32 exec_lo, exec_lo, s3
.LBB38_28:                              ;   in Loop: Header=BB38_4 Depth=1
	s_delay_alu instid0(SALU_CYCLE_1) | instskip(SKIP_1) | instid1(VALU_DEP_1)
	s_or_b32 exec_lo, exec_lo, s26
	s_waitcnt vmcnt(0)
	v_dual_add_f32 v8, v8, v23 :: v_dual_add_f32 v9, v9, v24
	v_cmp_eq_u32_e32 vcc_lo, v1, v7
	s_mov_b32 s3, exec_lo
	s_delay_alu instid0(VALU_DEP_2) | instskip(NEXT) | instid1(VALU_DEP_1)
	v_dual_cndmask_b32 v10, v24, v9 :: v_dual_cndmask_b32 v7, v23, v8
	v_cmp_gt_f32_e32 vcc_lo, 0, v7
	v_cndmask_b32_e64 v8, v7, -v7, vcc_lo
	s_delay_alu instid0(VALU_DEP_3) | instskip(SKIP_1) | instid1(VALU_DEP_1)
	v_cmp_gt_f32_e32 vcc_lo, 0, v10
                                        ; implicit-def: $vgpr7
	v_cndmask_b32_e64 v9, v10, -v10, vcc_lo
	v_cmpx_ngt_f32_e32 v8, v9
	s_xor_b32 s26, exec_lo, s3
	s_cbranch_execz .LBB38_32
; %bb.29:                               ;   in Loop: Header=BB38_4 Depth=1
	v_mov_b32_e32 v7, 0
	s_mov_b32 s27, exec_lo
	v_cmpx_neq_f32_e32 0, v10
	s_cbranch_execz .LBB38_31
; %bb.30:                               ;   in Loop: Header=BB38_4 Depth=1
	v_div_scale_f32 v7, null, v9, v9, v8
	v_div_scale_f32 v12, vcc_lo, v8, v9, v8
	s_delay_alu instid0(VALU_DEP_2) | instskip(SKIP_2) | instid1(VALU_DEP_1)
	v_rcp_f32_e32 v10, v7
	s_waitcnt_depctr 0xfff
	v_fma_f32 v11, -v7, v10, 1.0
	v_fmac_f32_e32 v10, v11, v10
	s_delay_alu instid0(VALU_DEP_1) | instskip(NEXT) | instid1(VALU_DEP_1)
	v_mul_f32_e32 v11, v12, v10
	v_fma_f32 v13, -v7, v11, v12
	s_delay_alu instid0(VALU_DEP_1) | instskip(NEXT) | instid1(VALU_DEP_1)
	v_fmac_f32_e32 v11, v13, v10
	v_fma_f32 v7, -v7, v11, v12
	s_delay_alu instid0(VALU_DEP_1) | instskip(NEXT) | instid1(VALU_DEP_1)
	v_div_fmas_f32 v7, v7, v10, v11
	v_div_fixup_f32 v7, v7, v9, v8
	s_delay_alu instid0(VALU_DEP_1) | instskip(NEXT) | instid1(VALU_DEP_1)
	v_fma_f32 v7, v7, v7, 1.0
	v_mul_f32_e32 v8, 0x4f800000, v7
	v_cmp_gt_f32_e32 vcc_lo, 0xf800000, v7
	s_delay_alu instid0(VALU_DEP_2) | instskip(NEXT) | instid1(VALU_DEP_1)
	v_cndmask_b32_e32 v7, v7, v8, vcc_lo
	v_sqrt_f32_e32 v8, v7
	s_waitcnt_depctr 0xfff
	v_add_nc_u32_e32 v10, -1, v8
	v_add_nc_u32_e32 v11, 1, v8
	s_delay_alu instid0(VALU_DEP_2) | instskip(NEXT) | instid1(VALU_DEP_2)
	v_fma_f32 v12, -v10, v8, v7
	v_fma_f32 v13, -v11, v8, v7
	s_delay_alu instid0(VALU_DEP_2) | instskip(NEXT) | instid1(VALU_DEP_1)
	v_cmp_ge_f32_e64 s3, 0, v12
	v_cndmask_b32_e64 v8, v8, v10, s3
	s_delay_alu instid0(VALU_DEP_3) | instskip(NEXT) | instid1(VALU_DEP_1)
	v_cmp_lt_f32_e64 s3, 0, v13
	v_cndmask_b32_e64 v8, v8, v11, s3
	s_delay_alu instid0(VALU_DEP_1) | instskip(NEXT) | instid1(VALU_DEP_1)
	v_mul_f32_e32 v10, 0x37800000, v8
	v_cndmask_b32_e32 v8, v8, v10, vcc_lo
	v_cmp_class_f32_e64 vcc_lo, v7, 0x260
	s_delay_alu instid0(VALU_DEP_2) | instskip(NEXT) | instid1(VALU_DEP_1)
	v_cndmask_b32_e32 v7, v8, v7, vcc_lo
	v_mul_f32_e32 v7, v9, v7
.LBB38_31:                              ;   in Loop: Header=BB38_4 Depth=1
	s_or_b32 exec_lo, exec_lo, s27
                                        ; implicit-def: $vgpr8
                                        ; implicit-def: $vgpr9
.LBB38_32:                              ;   in Loop: Header=BB38_4 Depth=1
	s_and_not1_saveexec_b32 s26, s26
	s_cbranch_execz .LBB38_34
; %bb.33:                               ;   in Loop: Header=BB38_4 Depth=1
	v_div_scale_f32 v7, null, v8, v8, v9
	v_div_scale_f32 v12, vcc_lo, v9, v8, v9
	s_delay_alu instid0(VALU_DEP_2) | instskip(SKIP_2) | instid1(VALU_DEP_1)
	v_rcp_f32_e32 v10, v7
	s_waitcnt_depctr 0xfff
	v_fma_f32 v11, -v7, v10, 1.0
	v_fmac_f32_e32 v10, v11, v10
	s_delay_alu instid0(VALU_DEP_1) | instskip(NEXT) | instid1(VALU_DEP_1)
	v_mul_f32_e32 v11, v12, v10
	v_fma_f32 v13, -v7, v11, v12
	s_delay_alu instid0(VALU_DEP_1) | instskip(NEXT) | instid1(VALU_DEP_1)
	v_fmac_f32_e32 v11, v13, v10
	v_fma_f32 v7, -v7, v11, v12
	s_delay_alu instid0(VALU_DEP_1) | instskip(NEXT) | instid1(VALU_DEP_1)
	v_div_fmas_f32 v7, v7, v10, v11
	v_div_fixup_f32 v7, v7, v8, v9
	s_delay_alu instid0(VALU_DEP_1) | instskip(NEXT) | instid1(VALU_DEP_1)
	v_fma_f32 v7, v7, v7, 1.0
	v_mul_f32_e32 v9, 0x4f800000, v7
	v_cmp_gt_f32_e32 vcc_lo, 0xf800000, v7
	s_delay_alu instid0(VALU_DEP_2) | instskip(NEXT) | instid1(VALU_DEP_1)
	v_cndmask_b32_e32 v7, v7, v9, vcc_lo
	v_sqrt_f32_e32 v9, v7
	s_waitcnt_depctr 0xfff
	v_add_nc_u32_e32 v10, -1, v9
	v_add_nc_u32_e32 v11, 1, v9
	s_delay_alu instid0(VALU_DEP_2) | instskip(NEXT) | instid1(VALU_DEP_2)
	v_fma_f32 v12, -v10, v9, v7
	v_fma_f32 v13, -v11, v9, v7
	s_delay_alu instid0(VALU_DEP_2) | instskip(NEXT) | instid1(VALU_DEP_1)
	v_cmp_ge_f32_e64 s3, 0, v12
	v_cndmask_b32_e64 v9, v9, v10, s3
	s_delay_alu instid0(VALU_DEP_3) | instskip(NEXT) | instid1(VALU_DEP_1)
	v_cmp_lt_f32_e64 s3, 0, v13
	v_cndmask_b32_e64 v9, v9, v11, s3
	s_delay_alu instid0(VALU_DEP_1) | instskip(NEXT) | instid1(VALU_DEP_1)
	v_mul_f32_e32 v10, 0x37800000, v9
	v_cndmask_b32_e32 v9, v9, v10, vcc_lo
	v_cmp_class_f32_e64 vcc_lo, v7, 0x260
	s_delay_alu instid0(VALU_DEP_2) | instskip(NEXT) | instid1(VALU_DEP_1)
	v_cndmask_b32_e32 v7, v9, v7, vcc_lo
	v_mul_f32_e32 v7, v8, v7
.LBB38_34:                              ;   in Loop: Header=BB38_4 Depth=1
	s_or_b32 exec_lo, exec_lo, s26
	v_cmp_gt_f32_e32 vcc_lo, 0, v5
                                        ; implicit-def: $vgpr10
	s_mov_b32 s3, exec_lo
	v_cndmask_b32_e64 v8, v5, -v5, vcc_lo
	v_cmp_gt_f32_e32 vcc_lo, 0, v6
	v_cndmask_b32_e64 v9, v6, -v6, vcc_lo
	s_delay_alu instid0(VALU_DEP_1)
	v_cmpx_ngt_f32_e32 v8, v9
	s_xor_b32 s26, exec_lo, s3
	s_cbranch_execnz .LBB38_37
; %bb.35:                               ;   in Loop: Header=BB38_4 Depth=1
	s_and_not1_saveexec_b32 s26, s26
	s_cbranch_execnz .LBB38_40
.LBB38_36:                              ;   in Loop: Header=BB38_4 Depth=1
	s_or_b32 exec_lo, exec_lo, s26
	v_cmp_class_f32_e64 s26, v10, 0x1f8
	s_delay_alu instid0(VALU_DEP_1)
	s_and_saveexec_b32 s3, s26
	s_cbranch_execz .LBB38_3
	s_branch .LBB38_41
.LBB38_37:                              ;   in Loop: Header=BB38_4 Depth=1
	v_mov_b32_e32 v10, 0
	s_mov_b32 s27, exec_lo
	v_cmpx_neq_f32_e32 0, v6
	s_cbranch_execz .LBB38_39
; %bb.38:                               ;   in Loop: Header=BB38_4 Depth=1
	v_div_scale_f32 v10, null, v9, v9, v8
	v_div_scale_f32 v13, vcc_lo, v8, v9, v8
	s_delay_alu instid0(VALU_DEP_2) | instskip(SKIP_2) | instid1(VALU_DEP_1)
	v_rcp_f32_e32 v11, v10
	s_waitcnt_depctr 0xfff
	v_fma_f32 v12, -v10, v11, 1.0
	v_fmac_f32_e32 v11, v12, v11
	s_delay_alu instid0(VALU_DEP_1) | instskip(NEXT) | instid1(VALU_DEP_1)
	v_mul_f32_e32 v12, v13, v11
	v_fma_f32 v14, -v10, v12, v13
	s_delay_alu instid0(VALU_DEP_1) | instskip(NEXT) | instid1(VALU_DEP_1)
	v_fmac_f32_e32 v12, v14, v11
	v_fma_f32 v10, -v10, v12, v13
	s_delay_alu instid0(VALU_DEP_1) | instskip(NEXT) | instid1(VALU_DEP_1)
	v_div_fmas_f32 v10, v10, v11, v12
	v_div_fixup_f32 v8, v10, v9, v8
	s_delay_alu instid0(VALU_DEP_1) | instskip(NEXT) | instid1(VALU_DEP_1)
	v_fma_f32 v8, v8, v8, 1.0
	v_mul_f32_e32 v10, 0x4f800000, v8
	v_cmp_gt_f32_e32 vcc_lo, 0xf800000, v8
	s_delay_alu instid0(VALU_DEP_2) | instskip(NEXT) | instid1(VALU_DEP_1)
	v_cndmask_b32_e32 v8, v8, v10, vcc_lo
	v_sqrt_f32_e32 v10, v8
	s_waitcnt_depctr 0xfff
	v_add_nc_u32_e32 v11, -1, v10
	v_add_nc_u32_e32 v12, 1, v10
	s_delay_alu instid0(VALU_DEP_2) | instskip(NEXT) | instid1(VALU_DEP_2)
	v_fma_f32 v13, -v11, v10, v8
	v_fma_f32 v14, -v12, v10, v8
	s_delay_alu instid0(VALU_DEP_2) | instskip(NEXT) | instid1(VALU_DEP_1)
	v_cmp_ge_f32_e64 s3, 0, v13
	v_cndmask_b32_e64 v10, v10, v11, s3
	s_delay_alu instid0(VALU_DEP_3) | instskip(NEXT) | instid1(VALU_DEP_1)
	v_cmp_lt_f32_e64 s3, 0, v14
	v_cndmask_b32_e64 v10, v10, v12, s3
	s_delay_alu instid0(VALU_DEP_1) | instskip(NEXT) | instid1(VALU_DEP_1)
	v_mul_f32_e32 v11, 0x37800000, v10
	v_cndmask_b32_e32 v10, v10, v11, vcc_lo
	v_cmp_class_f32_e64 vcc_lo, v8, 0x260
	s_delay_alu instid0(VALU_DEP_2) | instskip(NEXT) | instid1(VALU_DEP_1)
	v_cndmask_b32_e32 v8, v10, v8, vcc_lo
	v_mul_f32_e32 v10, v9, v8
.LBB38_39:                              ;   in Loop: Header=BB38_4 Depth=1
	s_or_b32 exec_lo, exec_lo, s27
                                        ; implicit-def: $vgpr8
                                        ; implicit-def: $vgpr9
	s_and_not1_saveexec_b32 s26, s26
	s_cbranch_execz .LBB38_36
.LBB38_40:                              ;   in Loop: Header=BB38_4 Depth=1
	v_div_scale_f32 v10, null, v8, v8, v9
	v_div_scale_f32 v13, vcc_lo, v9, v8, v9
	s_delay_alu instid0(VALU_DEP_2) | instskip(SKIP_2) | instid1(VALU_DEP_1)
	v_rcp_f32_e32 v11, v10
	s_waitcnt_depctr 0xfff
	v_fma_f32 v12, -v10, v11, 1.0
	v_fmac_f32_e32 v11, v12, v11
	s_delay_alu instid0(VALU_DEP_1) | instskip(NEXT) | instid1(VALU_DEP_1)
	v_mul_f32_e32 v12, v13, v11
	v_fma_f32 v14, -v10, v12, v13
	s_delay_alu instid0(VALU_DEP_1) | instskip(NEXT) | instid1(VALU_DEP_1)
	v_fmac_f32_e32 v12, v14, v11
	v_fma_f32 v10, -v10, v12, v13
	s_delay_alu instid0(VALU_DEP_1) | instskip(NEXT) | instid1(VALU_DEP_1)
	v_div_fmas_f32 v10, v10, v11, v12
	v_div_fixup_f32 v9, v10, v8, v9
	s_delay_alu instid0(VALU_DEP_1) | instskip(NEXT) | instid1(VALU_DEP_1)
	v_fma_f32 v9, v9, v9, 1.0
	v_mul_f32_e32 v10, 0x4f800000, v9
	v_cmp_gt_f32_e32 vcc_lo, 0xf800000, v9
	s_delay_alu instid0(VALU_DEP_2) | instskip(NEXT) | instid1(VALU_DEP_1)
	v_cndmask_b32_e32 v9, v9, v10, vcc_lo
	v_sqrt_f32_e32 v10, v9
	s_waitcnt_depctr 0xfff
	v_add_nc_u32_e32 v11, -1, v10
	v_add_nc_u32_e32 v12, 1, v10
	s_delay_alu instid0(VALU_DEP_2) | instskip(NEXT) | instid1(VALU_DEP_2)
	v_fma_f32 v13, -v11, v10, v9
	v_fma_f32 v14, -v12, v10, v9
	s_delay_alu instid0(VALU_DEP_2) | instskip(NEXT) | instid1(VALU_DEP_1)
	v_cmp_ge_f32_e64 s3, 0, v13
	v_cndmask_b32_e64 v10, v10, v11, s3
	s_delay_alu instid0(VALU_DEP_3) | instskip(NEXT) | instid1(VALU_DEP_1)
	v_cmp_lt_f32_e64 s3, 0, v14
	v_cndmask_b32_e64 v10, v10, v12, s3
	s_delay_alu instid0(VALU_DEP_1) | instskip(NEXT) | instid1(VALU_DEP_1)
	v_mul_f32_e32 v11, 0x37800000, v10
	v_cndmask_b32_e32 v10, v10, v11, vcc_lo
	v_cmp_class_f32_e64 vcc_lo, v9, 0x260
	s_delay_alu instid0(VALU_DEP_2) | instskip(NEXT) | instid1(VALU_DEP_1)
	v_cndmask_b32_e32 v9, v10, v9, vcc_lo
	v_mul_f32_e32 v10, v8, v9
	s_or_b32 exec_lo, exec_lo, s26
	s_delay_alu instid0(VALU_DEP_1) | instskip(NEXT) | instid1(VALU_DEP_1)
	v_cmp_class_f32_e64 s26, v10, 0x1f8
	s_and_saveexec_b32 s3, s26
	s_cbranch_execz .LBB38_3
.LBB38_41:                              ;   in Loop: Header=BB38_4 Depth=1
	v_add_co_u32 v3, vcc_lo, s18, v3
	v_add_co_ci_u32_e32 v4, vcc_lo, s19, v4, vcc_lo
	global_store_b64 v[3:4], v[5:6], off
	s_branch .LBB38_3
.LBB38_42:
	s_or_b32 exec_lo, exec_lo, s5
.LBB38_43:
	s_delay_alu instid0(SALU_CYCLE_1)
	s_or_b32 exec_lo, exec_lo, s25
.LBB38_44:
	s_delay_alu instid0(SALU_CYCLE_1)
	s_or_b32 exec_lo, exec_lo, s24
	v_lshlrev_b32_e32 v1, 2, v0
	s_mov_b32 s2, exec_lo
	ds_store_b32 v1, v18
	s_waitcnt lgkmcnt(0)
	s_waitcnt_vscnt null, 0x0
	s_barrier
	buffer_gl0_inv
	v_cmpx_gt_u32_e32 0x200, v0
	s_cbranch_execz .LBB38_46
; %bb.45:
	ds_load_2addr_stride64_b32 v[2:3], v1 offset1:8
	s_waitcnt lgkmcnt(0)
	v_cmp_lt_f32_e32 vcc_lo, v2, v3
	v_cndmask_b32_e32 v2, v2, v3, vcc_lo
	ds_store_b32 v1, v2
.LBB38_46:
	s_or_b32 exec_lo, exec_lo, s2
	s_delay_alu instid0(SALU_CYCLE_1)
	s_mov_b32 s2, exec_lo
	s_waitcnt lgkmcnt(0)
	s_barrier
	buffer_gl0_inv
	v_cmpx_gt_u32_e32 0x100, v0
	s_cbranch_execz .LBB38_48
; %bb.47:
	ds_load_2addr_stride64_b32 v[2:3], v1 offset1:4
	s_waitcnt lgkmcnt(0)
	v_cmp_lt_f32_e32 vcc_lo, v2, v3
	v_cndmask_b32_e32 v2, v2, v3, vcc_lo
	ds_store_b32 v1, v2
.LBB38_48:
	s_or_b32 exec_lo, exec_lo, s2
	s_delay_alu instid0(SALU_CYCLE_1)
	s_mov_b32 s2, exec_lo
	s_waitcnt lgkmcnt(0)
	s_barrier
	buffer_gl0_inv
	v_cmpx_gt_u32_e32 0x80, v0
	s_cbranch_execz .LBB38_50
; %bb.49:
	ds_load_2addr_stride64_b32 v[2:3], v1 offset1:2
	s_waitcnt lgkmcnt(0)
	v_cmp_lt_f32_e32 vcc_lo, v2, v3
	v_cndmask_b32_e32 v2, v2, v3, vcc_lo
	ds_store_b32 v1, v2
.LBB38_50:
	s_or_b32 exec_lo, exec_lo, s2
	s_delay_alu instid0(SALU_CYCLE_1)
	s_mov_b32 s2, exec_lo
	s_waitcnt lgkmcnt(0)
	s_barrier
	buffer_gl0_inv
	v_cmpx_gt_u32_e32 64, v0
	s_cbranch_execz .LBB38_52
; %bb.51:
	ds_load_2addr_stride64_b32 v[2:3], v1 offset1:1
	s_waitcnt lgkmcnt(0)
	v_cmp_lt_f32_e32 vcc_lo, v2, v3
	v_cndmask_b32_e32 v2, v2, v3, vcc_lo
	ds_store_b32 v1, v2
.LBB38_52:
	s_or_b32 exec_lo, exec_lo, s2
	s_delay_alu instid0(SALU_CYCLE_1)
	s_mov_b32 s2, exec_lo
	s_waitcnt lgkmcnt(0)
	s_barrier
	buffer_gl0_inv
	v_cmpx_gt_u32_e32 32, v0
	s_cbranch_execz .LBB38_54
; %bb.53:
	ds_load_2addr_b32 v[2:3], v1 offset1:32
	s_waitcnt lgkmcnt(0)
	v_cmp_lt_f32_e32 vcc_lo, v2, v3
	v_cndmask_b32_e32 v2, v2, v3, vcc_lo
	ds_store_b32 v1, v2
.LBB38_54:
	s_or_b32 exec_lo, exec_lo, s2
	s_delay_alu instid0(SALU_CYCLE_1)
	s_mov_b32 s2, exec_lo
	s_waitcnt lgkmcnt(0)
	s_barrier
	buffer_gl0_inv
	v_cmpx_gt_u32_e32 16, v0
	s_cbranch_execz .LBB38_56
; %bb.55:
	ds_load_2addr_b32 v[2:3], v1 offset1:16
	s_waitcnt lgkmcnt(0)
	v_cmp_lt_f32_e32 vcc_lo, v2, v3
	v_cndmask_b32_e32 v2, v2, v3, vcc_lo
	ds_store_b32 v1, v2
.LBB38_56:
	s_or_b32 exec_lo, exec_lo, s2
	s_delay_alu instid0(SALU_CYCLE_1)
	s_mov_b32 s2, exec_lo
	s_waitcnt lgkmcnt(0)
	;; [unrolled: 15-line block ×4, first 2 shown]
	s_barrier
	buffer_gl0_inv
	v_cmpx_gt_u32_e32 2, v0
	s_cbranch_execz .LBB38_62
; %bb.61:
	ds_load_2addr_b32 v[2:3], v1 offset1:2
	s_waitcnt lgkmcnt(0)
	v_cmp_lt_f32_e32 vcc_lo, v2, v3
	v_cndmask_b32_e32 v2, v2, v3, vcc_lo
	ds_store_b32 v1, v2
.LBB38_62:
	s_or_b32 exec_lo, exec_lo, s2
	v_cmp_eq_u32_e32 vcc_lo, 0, v0
	s_waitcnt lgkmcnt(0)
	s_barrier
	buffer_gl0_inv
	s_and_saveexec_b32 s3, vcc_lo
	s_cbranch_execz .LBB38_64
; %bb.63:
	v_mov_b32_e32 v2, 0
	ds_load_b64 v[0:1], v2
	s_waitcnt lgkmcnt(0)
	v_cmp_lt_f32_e64 s2, v0, v1
	s_delay_alu instid0(VALU_DEP_1)
	v_cndmask_b32_e64 v0, v0, v1, s2
	ds_store_b32 v2, v0
.LBB38_64:
	s_or_b32 exec_lo, exec_lo, s3
	s_waitcnt lgkmcnt(0)
	s_barrier
	buffer_gl0_inv
	s_and_saveexec_b32 s2, vcc_lo
	s_cbranch_execz .LBB38_69
; %bb.65:
	s_load_b128 s[4:7], s[0:1], 0x70
	v_mov_b32_e32 v2, 0
	s_mov_b32 s1, 0
                                        ; implicit-def: $sgpr2
                                        ; implicit-def: $sgpr3
	ds_load_b32 v0, v2
	s_waitcnt lgkmcnt(0)
	s_load_b32 s0, s[6:7], 0x0
	s_waitcnt lgkmcnt(0)
	v_div_scale_f32 v3, null, s0, s0, v0
	v_div_scale_f32 v6, vcc_lo, v0, s0, v0
	s_delay_alu instid0(VALU_DEP_2) | instskip(SKIP_2) | instid1(VALU_DEP_1)
	v_rcp_f32_e32 v4, v3
	s_waitcnt_depctr 0xfff
	v_fma_f32 v5, -v3, v4, 1.0
	v_fmac_f32_e32 v4, v5, v4
	s_delay_alu instid0(VALU_DEP_1) | instskip(SKIP_2) | instid1(VALU_DEP_1)
	v_mul_f32_e32 v5, v6, v4
	global_load_b32 v1, v2, s[4:5] glc
	v_fma_f32 v7, -v3, v5, v6
	v_fmac_f32_e32 v5, v7, v4
	s_delay_alu instid0(VALU_DEP_1) | instskip(NEXT) | instid1(VALU_DEP_1)
	v_fma_f32 v3, -v3, v5, v6
	v_div_fmas_f32 v3, v3, v4, v5
	s_delay_alu instid0(VALU_DEP_1) | instskip(NEXT) | instid1(VALU_DEP_1)
	v_div_fixup_f32 v0, v3, s0, v0
	v_cmp_eq_f32_e32 vcc_lo, 0, v0
	s_waitcnt vmcnt(0)
	v_cmp_eq_u32_e64 s6, 0x80000000, v1
	s_set_inst_prefetch_distance 0x1
	s_branch .LBB38_67
	.p2align	6
.LBB38_66:                              ;   in Loop: Header=BB38_67 Depth=1
	s_or_b32 exec_lo, exec_lo, s7
	s_delay_alu instid0(SALU_CYCLE_1) | instskip(NEXT) | instid1(SALU_CYCLE_1)
	s_and_b32 s0, exec_lo, s2
	s_or_b32 s1, s0, s1
	s_and_not1_b32 s0, s6, exec_lo
	s_and_b32 s6, s3, exec_lo
	s_delay_alu instid0(SALU_CYCLE_1)
	s_or_b32 s6, s0, s6
	s_and_not1_b32 exec_lo, exec_lo, s1
	s_cbranch_execz .LBB38_69
.LBB38_67:                              ; =>This Inner Loop Header: Depth=1
	v_cmp_lt_f32_e64 s0, v1, v0
	s_delay_alu instid0(VALU_DEP_2) | instskip(SKIP_2) | instid1(VALU_DEP_1)
	s_and_b32 s7, vcc_lo, s6
	s_and_not1_b32 s3, s3, exec_lo
	s_or_b32 s2, s2, exec_lo
	s_or_b32 s0, s0, s7
	s_delay_alu instid0(SALU_CYCLE_1)
	s_and_saveexec_b32 s7, s0
	s_cbranch_execz .LBB38_66
; %bb.68:                               ;   in Loop: Header=BB38_67 Depth=1
	global_atomic_cmpswap_b32 v3, v2, v[0:1], s[4:5] glc
	s_and_not1_b32 s3, s3, exec_lo
	s_and_not1_b32 s2, s2, exec_lo
	s_waitcnt vmcnt(0)
	v_cmp_eq_u32_e64 s0, v3, v1
	s_delay_alu instid0(VALU_DEP_1) | instskip(SKIP_1) | instid1(SALU_CYCLE_1)
	v_cndmask_b32_e64 v1, v3, v1, s0
	s_and_b32 s0, s0, exec_lo
	s_or_b32 s2, s2, s0
	s_delay_alu instid0(VALU_DEP_1) | instskip(SKIP_1) | instid1(VALU_DEP_2)
	v_cmp_class_f32_e64 s6, v1, 32
	v_mov_b32_e32 v1, v3
	s_and_b32 s6, s6, exec_lo
	s_delay_alu instid0(SALU_CYCLE_1)
	s_or_b32 s3, s3, s6
                                        ; implicit-def: $sgpr6
	s_branch .LBB38_66
.LBB38_69:
	s_set_inst_prefetch_distance 0x2
	s_endpgm
	.section	.rodata,"a",@progbits
	.p2align	6, 0x0
	.amdhsa_kernel _ZN9rocsparseL16kernel_calculateILi1024ELi1ELb1E21rocsparse_complex_numIfEiiEEvT4_T3_PKS4_S6_PKS3_PKT2_21rocsparse_index_base_S6_S6_S8_S6_S6_S8_S6_PS9_PNS_15floating_traitsIS9_E6data_tEPKSG_
		.amdhsa_group_segment_fixed_size 4096
		.amdhsa_private_segment_fixed_size 0
		.amdhsa_kernarg_size 128
		.amdhsa_user_sgpr_count 15
		.amdhsa_user_sgpr_dispatch_ptr 0
		.amdhsa_user_sgpr_queue_ptr 0
		.amdhsa_user_sgpr_kernarg_segment_ptr 1
		.amdhsa_user_sgpr_dispatch_id 0
		.amdhsa_user_sgpr_private_segment_size 0
		.amdhsa_wavefront_size32 1
		.amdhsa_uses_dynamic_stack 0
		.amdhsa_enable_private_segment 0
		.amdhsa_system_sgpr_workgroup_id_x 1
		.amdhsa_system_sgpr_workgroup_id_y 0
		.amdhsa_system_sgpr_workgroup_id_z 0
		.amdhsa_system_sgpr_workgroup_info 0
		.amdhsa_system_vgpr_workitem_id 0
		.amdhsa_next_free_vgpr 28
		.amdhsa_next_free_sgpr 32
		.amdhsa_reserve_vcc 1
		.amdhsa_float_round_mode_32 0
		.amdhsa_float_round_mode_16_64 0
		.amdhsa_float_denorm_mode_32 3
		.amdhsa_float_denorm_mode_16_64 3
		.amdhsa_dx10_clamp 1
		.amdhsa_ieee_mode 1
		.amdhsa_fp16_overflow 0
		.amdhsa_workgroup_processor_mode 1
		.amdhsa_memory_ordered 1
		.amdhsa_forward_progress 0
		.amdhsa_shared_vgpr_count 0
		.amdhsa_exception_fp_ieee_invalid_op 0
		.amdhsa_exception_fp_denorm_src 0
		.amdhsa_exception_fp_ieee_div_zero 0
		.amdhsa_exception_fp_ieee_overflow 0
		.amdhsa_exception_fp_ieee_underflow 0
		.amdhsa_exception_fp_ieee_inexact 0
		.amdhsa_exception_int_div_zero 0
	.end_amdhsa_kernel
	.section	.text._ZN9rocsparseL16kernel_calculateILi1024ELi1ELb1E21rocsparse_complex_numIfEiiEEvT4_T3_PKS4_S6_PKS3_PKT2_21rocsparse_index_base_S6_S6_S8_S6_S6_S8_S6_PS9_PNS_15floating_traitsIS9_E6data_tEPKSG_,"axG",@progbits,_ZN9rocsparseL16kernel_calculateILi1024ELi1ELb1E21rocsparse_complex_numIfEiiEEvT4_T3_PKS4_S6_PKS3_PKT2_21rocsparse_index_base_S6_S6_S8_S6_S6_S8_S6_PS9_PNS_15floating_traitsIS9_E6data_tEPKSG_,comdat
.Lfunc_end38:
	.size	_ZN9rocsparseL16kernel_calculateILi1024ELi1ELb1E21rocsparse_complex_numIfEiiEEvT4_T3_PKS4_S6_PKS3_PKT2_21rocsparse_index_base_S6_S6_S8_S6_S6_S8_S6_PS9_PNS_15floating_traitsIS9_E6data_tEPKSG_, .Lfunc_end38-_ZN9rocsparseL16kernel_calculateILi1024ELi1ELb1E21rocsparse_complex_numIfEiiEEvT4_T3_PKS4_S6_PKS3_PKT2_21rocsparse_index_base_S6_S6_S8_S6_S6_S8_S6_PS9_PNS_15floating_traitsIS9_E6data_tEPKSG_
                                        ; -- End function
	.section	.AMDGPU.csdata,"",@progbits
; Kernel info:
; codeLenInByte = 4016
; NumSgprs: 34
; NumVgprs: 28
; ScratchSize: 0
; MemoryBound: 0
; FloatMode: 240
; IeeeMode: 1
; LDSByteSize: 4096 bytes/workgroup (compile time only)
; SGPRBlocks: 4
; VGPRBlocks: 3
; NumSGPRsForWavesPerEU: 34
; NumVGPRsForWavesPerEU: 28
; Occupancy: 16
; WaveLimiterHint : 1
; COMPUTE_PGM_RSRC2:SCRATCH_EN: 0
; COMPUTE_PGM_RSRC2:USER_SGPR: 15
; COMPUTE_PGM_RSRC2:TRAP_HANDLER: 0
; COMPUTE_PGM_RSRC2:TGID_X_EN: 1
; COMPUTE_PGM_RSRC2:TGID_Y_EN: 0
; COMPUTE_PGM_RSRC2:TGID_Z_EN: 0
; COMPUTE_PGM_RSRC2:TIDIG_COMP_CNT: 0
	.section	.text._ZN9rocsparseL16kernel_calculateILi1024ELi2ELb1E21rocsparse_complex_numIfEiiEEvT4_T3_PKS4_S6_PKS3_PKT2_21rocsparse_index_base_S6_S6_S8_S6_S6_S8_S6_PS9_PNS_15floating_traitsIS9_E6data_tEPKSG_,"axG",@progbits,_ZN9rocsparseL16kernel_calculateILi1024ELi2ELb1E21rocsparse_complex_numIfEiiEEvT4_T3_PKS4_S6_PKS3_PKT2_21rocsparse_index_base_S6_S6_S8_S6_S6_S8_S6_PS9_PNS_15floating_traitsIS9_E6data_tEPKSG_,comdat
	.globl	_ZN9rocsparseL16kernel_calculateILi1024ELi2ELb1E21rocsparse_complex_numIfEiiEEvT4_T3_PKS4_S6_PKS3_PKT2_21rocsparse_index_base_S6_S6_S8_S6_S6_S8_S6_PS9_PNS_15floating_traitsIS9_E6data_tEPKSG_ ; -- Begin function _ZN9rocsparseL16kernel_calculateILi1024ELi2ELb1E21rocsparse_complex_numIfEiiEEvT4_T3_PKS4_S6_PKS3_PKT2_21rocsparse_index_base_S6_S6_S8_S6_S6_S8_S6_PS9_PNS_15floating_traitsIS9_E6data_tEPKSG_
	.p2align	8
	.type	_ZN9rocsparseL16kernel_calculateILi1024ELi2ELb1E21rocsparse_complex_numIfEiiEEvT4_T3_PKS4_S6_PKS3_PKT2_21rocsparse_index_base_S6_S6_S8_S6_S6_S8_S6_PS9_PNS_15floating_traitsIS9_E6data_tEPKSG_,@function
_ZN9rocsparseL16kernel_calculateILi1024ELi2ELb1E21rocsparse_complex_numIfEiiEEvT4_T3_PKS4_S6_PKS3_PKT2_21rocsparse_index_base_S6_S6_S8_S6_S6_S8_S6_PS9_PNS_15floating_traitsIS9_E6data_tEPKSG_: ; @_ZN9rocsparseL16kernel_calculateILi1024ELi2ELb1E21rocsparse_complex_numIfEiiEEvT4_T3_PKS4_S6_PKS3_PKT2_21rocsparse_index_base_S6_S6_S8_S6_S6_S8_S6_PS9_PNS_15floating_traitsIS9_E6data_tEPKSG_
; %bb.0:
	s_load_b32 s28, s[0:1], 0x0
	v_lshrrev_b32_e32 v18, 1, v0
	v_and_b32_e32 v19, 1, v0
	v_mov_b32_e32 v21, 0
	s_mov_b32 s29, exec_lo
	s_delay_alu instid0(VALU_DEP_3) | instskip(SKIP_1) | instid1(VALU_DEP_1)
	v_lshl_or_b32 v20, s15, 10, v18
	s_waitcnt lgkmcnt(0)
	v_cmpx_gt_i32_e64 s28, v20
	s_cbranch_execz .LBB39_47
; %bb.1:
	s_clause 0x3
	s_load_b32 s30, s[0:1], 0x28
	s_load_b256 s[4:11], s[0:1], 0x50
	s_load_b256 s[12:19], s[0:1], 0x30
	;; [unrolled: 1-line block ×3, first 2 shown]
	v_mov_b32_e32 v21, 0
	s_mov_b32 s2, 0
	s_mov_b32 s31, -1
	s_waitcnt lgkmcnt(0)
	v_subrev_nc_u32_e32 v22, s30, v19
	s_branch .LBB39_5
.LBB39_2:                               ;   in Loop: Header=BB39_5 Depth=1
	s_or_b32 exec_lo, exec_lo, s35
.LBB39_3:                               ;   in Loop: Header=BB39_5 Depth=1
	s_delay_alu instid0(SALU_CYCLE_1)
	s_or_b32 exec_lo, exec_lo, s34
.LBB39_4:                               ;   in Loop: Header=BB39_5 Depth=1
	s_delay_alu instid0(SALU_CYCLE_1)
	s_or_b32 exec_lo, exec_lo, s33
	s_xor_b32 s3, s31, -1
	s_movk_i32 s2, 0x200
	s_and_not1_b32 vcc_lo, exec_lo, s3
	s_mov_b32 s31, 0
	s_cbranch_vccz .LBB39_47
.LBB39_5:                               ; =>This Loop Header: Depth=1
                                        ;     Child Loop BB39_9 Depth 2
                                        ;       Child Loop BB39_12 Depth 3
                                        ;       Child Loop BB39_20 Depth 3
	;; [unrolled: 1-line block ×3, first 2 shown]
	v_or_b32_e32 v1, s2, v20
	s_mov_b32 s33, exec_lo
	s_delay_alu instid0(VALU_DEP_1)
	v_cmpx_gt_i32_e64 s28, v1
	s_cbranch_execz .LBB39_4
; %bb.6:                                ;   in Loop: Header=BB39_5 Depth=1
	v_ashrrev_i32_e32 v2, 31, v1
	s_mov_b32 s34, exec_lo
	s_delay_alu instid0(VALU_DEP_1) | instskip(NEXT) | instid1(VALU_DEP_1)
	v_lshlrev_b64 v[3:4], 2, v[1:2]
	v_add_co_u32 v5, vcc_lo, s22, v3
	s_delay_alu instid0(VALU_DEP_2)
	v_add_co_ci_u32_e32 v6, vcc_lo, s23, v4, vcc_lo
	v_add_co_u32 v7, vcc_lo, s20, v3
	v_add_co_ci_u32_e32 v8, vcc_lo, s21, v4, vcc_lo
	global_load_b32 v2, v[5:6], off
	global_load_b32 v5, v[7:8], off
	s_waitcnt vmcnt(1)
	v_subrev_nc_u32_e32 v23, s30, v2
	s_waitcnt vmcnt(0)
	v_add_nc_u32_e32 v2, v22, v5
	s_delay_alu instid0(VALU_DEP_1)
	v_cmpx_lt_i32_e64 v2, v23
	s_cbranch_execz .LBB39_3
; %bb.7:                                ;   in Loop: Header=BB39_5 Depth=1
	v_add_co_u32 v5, vcc_lo, s14, v3
	v_add_co_ci_u32_e32 v6, vcc_lo, s15, v4, vcc_lo
	v_add_co_u32 v3, vcc_lo, s12, v3
	v_add_co_ci_u32_e32 v4, vcc_lo, s13, v4, vcc_lo
	s_mov_b32 s35, 0
	global_load_b32 v5, v[5:6], off
	global_load_b32 v3, v[3:4], off
	s_waitcnt vmcnt(1)
	v_subrev_nc_u32_e32 v24, s30, v5
	s_waitcnt vmcnt(0)
	v_subrev_nc_u32_e32 v25, s30, v3
	v_cmp_lt_i32_e64 s2, v3, v5
	s_branch .LBB39_9
.LBB39_8:                               ;   in Loop: Header=BB39_9 Depth=2
	s_or_b32 exec_lo, exec_lo, s3
	v_cmp_nlg_f32_e64 s36, 0x7f800000, |v7|
	v_cmp_gt_f32_e32 vcc_lo, v21, v7
	s_delay_alu instid0(VALU_DEP_2) | instskip(SKIP_1) | instid1(VALU_DEP_1)
	s_or_b32 vcc_lo, s36, vcc_lo
	v_dual_cndmask_b32 v21, v7, v21 :: v_dual_add_nc_u32 v2, 2, v2
	v_cmp_ge_i32_e64 s3, v2, v23
	s_delay_alu instid0(VALU_DEP_1) | instskip(NEXT) | instid1(SALU_CYCLE_1)
	s_or_b32 s35, s3, s35
	s_and_not1_b32 exec_lo, exec_lo, s35
	s_cbranch_execz .LBB39_2
.LBB39_9:                               ;   Parent Loop BB39_5 Depth=1
                                        ; =>  This Loop Header: Depth=2
                                        ;       Child Loop BB39_12 Depth 3
                                        ;       Child Loop BB39_20 Depth 3
                                        ;       Child Loop BB39_28 Depth 3
	v_ashrrev_i32_e32 v3, 31, v2
	v_dual_mov_b32 v16, 0 :: v_dual_mov_b32 v17, 0
	s_delay_alu instid0(VALU_DEP_2) | instskip(NEXT) | instid1(VALU_DEP_1)
	v_lshlrev_b64 v[4:5], 2, v[2:3]
	v_add_co_u32 v4, vcc_lo, s24, v4
	s_delay_alu instid0(VALU_DEP_2) | instskip(SKIP_4) | instid1(VALU_DEP_1)
	v_add_co_ci_u32_e32 v5, vcc_lo, s25, v5, vcc_lo
	global_load_b32 v26, v[4:5], off
	v_lshlrev_b64 v[3:4], 3, v[2:3]
	s_waitcnt vmcnt(0)
	v_subrev_nc_u32_e32 v7, s30, v26
	v_ashrrev_i32_e32 v8, 31, v7
	s_delay_alu instid0(VALU_DEP_1) | instskip(NEXT) | instid1(VALU_DEP_1)
	v_lshlrev_b64 v[5:6], 2, v[7:8]
	v_add_co_u32 v8, vcc_lo, s14, v5
	s_delay_alu instid0(VALU_DEP_2)
	v_add_co_ci_u32_e32 v9, vcc_lo, s15, v6, vcc_lo
	v_add_co_u32 v10, vcc_lo, s4, v5
	v_add_co_ci_u32_e32 v11, vcc_lo, s5, v6, vcc_lo
	global_load_b32 v8, v[8:9], off
	v_add_co_u32 v5, vcc_lo, s18, v5
	v_add_co_ci_u32_e32 v6, vcc_lo, s19, v6, vcc_lo
	v_add_co_u32 v12, vcc_lo, s26, v3
	v_add_co_ci_u32_e32 v13, vcc_lo, s27, v4, vcc_lo
	global_load_b32 v10, v[10:11], off
	global_load_b32 v11, v[5:6], off
	s_waitcnt vmcnt(2)
	v_subrev_nc_u32_e32 v8, s30, v8
	s_delay_alu instid0(VALU_DEP_1) | instskip(SKIP_2) | instid1(VALU_DEP_2)
	v_ashrrev_i32_e32 v9, 31, v8
	s_waitcnt vmcnt(1)
	v_subrev_nc_u32_e32 v29, s30, v10
	v_lshlrev_b64 v[8:9], 3, v[8:9]
	s_delay_alu instid0(VALU_DEP_1) | instskip(NEXT) | instid1(VALU_DEP_2)
	v_add_co_u32 v5, vcc_lo, s10, v8
	v_add_co_ci_u32_e32 v6, vcc_lo, s11, v9, vcc_lo
	s_waitcnt vmcnt(0)
	v_cmp_lt_i32_e32 vcc_lo, v11, v10
	global_load_b64 v[14:15], v[12:13], off
	global_load_b64 v[8:9], v[5:6], off
	v_subrev_nc_u32_e32 v12, s30, v11
	v_mov_b32_e32 v10, v25
	s_and_b32 s3, s2, vcc_lo
	s_delay_alu instid0(SALU_CYCLE_1)
	s_and_saveexec_b32 s36, s3
	s_cbranch_execz .LBB39_15
; %bb.10:                               ;   in Loop: Header=BB39_9 Depth=2
	v_dual_mov_b32 v16, 0 :: v_dual_mov_b32 v17, 0
	v_mov_b32_e32 v10, v25
	s_mov_b32 s37, 0
	s_branch .LBB39_12
.LBB39_11:                              ;   in Loop: Header=BB39_12 Depth=3
	s_or_b32 exec_lo, exec_lo, s3
	v_cmp_le_i32_e32 vcc_lo, v13, v27
	v_add_co_ci_u32_e32 v10, vcc_lo, 0, v10, vcc_lo
	v_cmp_ge_i32_e32 vcc_lo, v13, v27
	v_add_co_ci_u32_e32 v12, vcc_lo, 0, v12, vcc_lo
	s_delay_alu instid0(VALU_DEP_3) | instskip(NEXT) | instid1(VALU_DEP_2)
	v_cmp_ge_i32_e32 vcc_lo, v10, v24
	v_cmp_ge_i32_e64 s3, v12, v29
	s_delay_alu instid0(VALU_DEP_1) | instskip(NEXT) | instid1(SALU_CYCLE_1)
	s_or_b32 s3, vcc_lo, s3
	s_and_b32 s3, exec_lo, s3
	s_delay_alu instid0(SALU_CYCLE_1) | instskip(NEXT) | instid1(SALU_CYCLE_1)
	s_or_b32 s37, s3, s37
	s_and_not1_b32 exec_lo, exec_lo, s37
	s_cbranch_execz .LBB39_14
.LBB39_12:                              ;   Parent Loop BB39_5 Depth=1
                                        ;     Parent Loop BB39_9 Depth=2
                                        ; =>    This Inner Loop Header: Depth=3
	s_delay_alu instid0(VALU_DEP_1) | instskip(SKIP_2) | instid1(VALU_DEP_2)
	v_ashrrev_i32_e32 v11, 31, v10
	v_ashrrev_i32_e32 v13, 31, v12
	s_mov_b32 s3, exec_lo
	v_lshlrev_b64 v[27:28], 2, v[10:11]
	s_delay_alu instid0(VALU_DEP_2) | instskip(NEXT) | instid1(VALU_DEP_2)
	v_lshlrev_b64 v[5:6], 2, v[12:13]
	v_add_co_u32 v27, vcc_lo, s16, v27
	s_delay_alu instid0(VALU_DEP_3) | instskip(NEXT) | instid1(VALU_DEP_3)
	v_add_co_ci_u32_e32 v28, vcc_lo, s17, v28, vcc_lo
	v_add_co_u32 v30, vcc_lo, s6, v5
	s_delay_alu instid0(VALU_DEP_4)
	v_add_co_ci_u32_e32 v31, vcc_lo, s7, v6, vcc_lo
	global_load_b32 v13, v[27:28], off
	global_load_b32 v27, v[30:31], off
	s_waitcnt vmcnt(0)
	v_cmpx_eq_u32_e64 v13, v27
	s_cbranch_execz .LBB39_11
; %bb.13:                               ;   in Loop: Header=BB39_12 Depth=3
	v_add_co_u32 v5, vcc_lo, s8, v5
	v_add_co_ci_u32_e32 v6, vcc_lo, s9, v6, vcc_lo
	v_lshlrev_b64 v[30:31], 3, v[10:11]
	global_load_b32 v5, v[5:6], off
	v_add_co_u32 v30, vcc_lo, s10, v30
	v_add_co_ci_u32_e32 v31, vcc_lo, s11, v31, vcc_lo
	s_waitcnt vmcnt(0)
	v_ashrrev_i32_e32 v6, 31, v5
	s_delay_alu instid0(VALU_DEP_1) | instskip(NEXT) | instid1(VALU_DEP_1)
	v_lshlrev_b64 v[5:6], 3, v[5:6]
	v_add_co_u32 v5, vcc_lo, s10, v5
	s_delay_alu instid0(VALU_DEP_2)
	v_add_co_ci_u32_e32 v6, vcc_lo, s11, v6, vcc_lo
	s_clause 0x1
	global_load_b64 v[30:31], v[30:31], off
	global_load_b64 v[5:6], v[5:6], off
	s_waitcnt vmcnt(0)
	v_fmac_f32_e32 v16, v30, v5
	v_fmac_f32_e32 v17, v31, v5
	s_delay_alu instid0(VALU_DEP_2) | instskip(NEXT) | instid1(VALU_DEP_2)
	v_fma_f32 v16, -v31, v6, v16
	v_fmac_f32_e32 v17, v30, v6
	s_branch .LBB39_11
.LBB39_14:                              ;   in Loop: Header=BB39_9 Depth=2
	s_or_b32 exec_lo, exec_lo, s37
.LBB39_15:                              ;   in Loop: Header=BB39_9 Depth=2
	s_delay_alu instid0(SALU_CYCLE_1)
	s_or_b32 exec_lo, exec_lo, s36
	s_waitcnt vmcnt(1)
	v_dual_sub_f32 v5, v14, v16 :: v_dual_sub_f32 v6, v15, v17
	s_mov_b32 s3, exec_lo
	v_cmpx_gt_i32_e64 v1, v7
	s_cbranch_execz .LBB39_17
; %bb.16:                               ;   in Loop: Header=BB39_9 Depth=2
	s_waitcnt vmcnt(0)
	v_mul_f32_e32 v11, v9, v9
	s_delay_alu instid0(VALU_DEP_1) | instskip(NEXT) | instid1(VALU_DEP_1)
	v_fmac_f32_e32 v11, v8, v8
	v_div_scale_f32 v13, null, v11, v11, 1.0
	v_div_scale_f32 v30, vcc_lo, 1.0, v11, 1.0
	s_delay_alu instid0(VALU_DEP_2) | instskip(SKIP_2) | instid1(VALU_DEP_1)
	v_rcp_f32_e32 v27, v13
	s_waitcnt_depctr 0xfff
	v_fma_f32 v28, -v13, v27, 1.0
	v_fmac_f32_e32 v27, v28, v27
	s_delay_alu instid0(VALU_DEP_1) | instskip(NEXT) | instid1(VALU_DEP_1)
	v_mul_f32_e32 v28, v30, v27
	v_fma_f32 v31, -v13, v28, v30
	s_delay_alu instid0(VALU_DEP_1) | instskip(NEXT) | instid1(VALU_DEP_1)
	v_fmac_f32_e32 v28, v31, v27
	v_fma_f32 v13, -v13, v28, v30
	s_delay_alu instid0(VALU_DEP_1) | instskip(SKIP_1) | instid1(VALU_DEP_2)
	v_div_fmas_f32 v13, v13, v27, v28
	v_mul_f32_e64 v28, v9, -v5
	v_div_fixup_f32 v11, v13, v11, 1.0
	s_delay_alu instid0(VALU_DEP_2) | instskip(NEXT) | instid1(VALU_DEP_1)
	v_dual_fmac_f32 v28, v6, v8 :: v_dual_mul_f32 v27, v9, v6
	v_mul_f32_e32 v6, v11, v28
	s_delay_alu instid0(VALU_DEP_2) | instskip(NEXT) | instid1(VALU_DEP_1)
	v_fmac_f32_e32 v27, v5, v8
	v_mul_f32_e32 v5, v11, v27
.LBB39_17:                              ;   in Loop: Header=BB39_9 Depth=2
	s_or_b32 exec_lo, exec_lo, s3
	v_dual_sub_f32 v27, v16, v14 :: v_dual_sub_f32 v28, v17, v15
	s_mov_b32 s36, exec_lo
	v_cmpx_lt_i32_e64 v12, v29
	s_cbranch_execz .LBB39_25
; %bb.18:                               ;   in Loop: Header=BB39_9 Depth=2
	v_ashrrev_i32_e32 v13, 31, v12
	s_mov_b32 s38, 0
                                        ; implicit-def: $sgpr37
                                        ; implicit-def: $sgpr40
                                        ; implicit-def: $sgpr39
	s_delay_alu instid0(VALU_DEP_1) | instskip(NEXT) | instid1(VALU_DEP_1)
	v_lshlrev_b64 v[14:15], 2, v[12:13]
	v_add_co_u32 v14, vcc_lo, s6, v14
	s_delay_alu instid0(VALU_DEP_2)
	v_add_co_ci_u32_e32 v15, vcc_lo, s7, v15, vcc_lo
	s_set_inst_prefetch_distance 0x1
	s_branch .LBB39_20
	.p2align	6
.LBB39_19:                              ;   in Loop: Header=BB39_20 Depth=3
	s_or_b32 exec_lo, exec_lo, s41
	s_delay_alu instid0(SALU_CYCLE_1) | instskip(NEXT) | instid1(SALU_CYCLE_1)
	s_and_b32 s3, exec_lo, s40
	s_or_b32 s38, s3, s38
	s_and_not1_b32 s3, s37, exec_lo
	s_and_b32 s37, s39, exec_lo
	s_delay_alu instid0(SALU_CYCLE_1)
	s_or_b32 s37, s3, s37
	s_and_not1_b32 exec_lo, exec_lo, s38
	s_cbranch_execz .LBB39_22
.LBB39_20:                              ;   Parent Loop BB39_5 Depth=1
                                        ;     Parent Loop BB39_9 Depth=2
                                        ; =>    This Inner Loop Header: Depth=3
	global_load_b32 v11, v[14:15], off
	v_dual_mov_b32 v17, v13 :: v_dual_mov_b32 v16, v12
	s_or_b32 s39, s39, exec_lo
	s_or_b32 s40, s40, exec_lo
	s_mov_b32 s41, exec_lo
                                        ; implicit-def: $vgpr12_vgpr13
	s_waitcnt vmcnt(0)
	v_subrev_nc_u32_e32 v11, s30, v11
	s_delay_alu instid0(VALU_DEP_1)
	v_cmpx_ne_u32_e64 v11, v1
	s_cbranch_execz .LBB39_19
; %bb.21:                               ;   in Loop: Header=BB39_20 Depth=3
	v_add_co_u32 v12, vcc_lo, v16, 1
	v_add_co_ci_u32_e32 v13, vcc_lo, 0, v17, vcc_lo
	v_add_co_u32 v14, s3, v14, 4
	s_delay_alu instid0(VALU_DEP_3) | instskip(SKIP_4) | instid1(SALU_CYCLE_1)
	v_cmp_ge_i32_e32 vcc_lo, v12, v29
	v_add_co_ci_u32_e64 v15, s3, 0, v15, s3
	s_and_not1_b32 s3, s40, exec_lo
	s_and_not1_b32 s39, s39, exec_lo
	s_and_b32 s40, vcc_lo, exec_lo
	s_or_b32 s40, s3, s40
	s_branch .LBB39_19
.LBB39_22:                              ;   in Loop: Header=BB39_9 Depth=2
	s_set_inst_prefetch_distance 0x2
	s_or_b32 exec_lo, exec_lo, s38
	s_and_saveexec_b32 s3, s37
	s_delay_alu instid0(SALU_CYCLE_1)
	s_xor_b32 s3, exec_lo, s3
	s_cbranch_execz .LBB39_24
; %bb.23:                               ;   in Loop: Header=BB39_9 Depth=2
	v_lshlrev_b64 v[11:12], 2, v[16:17]
	s_delay_alu instid0(VALU_DEP_1) | instskip(NEXT) | instid1(VALU_DEP_2)
	v_add_co_u32 v11, vcc_lo, s8, v11
	v_add_co_ci_u32_e32 v12, vcc_lo, s9, v12, vcc_lo
	global_load_b32 v11, v[11:12], off
	s_waitcnt vmcnt(0)
	v_ashrrev_i32_e32 v12, 31, v11
	s_delay_alu instid0(VALU_DEP_1) | instskip(NEXT) | instid1(VALU_DEP_1)
	v_lshlrev_b64 v[11:12], 3, v[11:12]
	v_add_co_u32 v11, vcc_lo, s10, v11
	s_delay_alu instid0(VALU_DEP_2)
	v_add_co_ci_u32_e32 v12, vcc_lo, s11, v12, vcc_lo
	global_load_b64 v[11:12], v[11:12], off
	s_waitcnt vmcnt(0)
	v_dual_add_f32 v27, v27, v11 :: v_dual_add_f32 v28, v28, v12
.LBB39_24:                              ;   in Loop: Header=BB39_9 Depth=2
	s_or_b32 exec_lo, exec_lo, s3
.LBB39_25:                              ;   in Loop: Header=BB39_9 Depth=2
	s_delay_alu instid0(SALU_CYCLE_1) | instskip(NEXT) | instid1(SALU_CYCLE_1)
	s_or_b32 exec_lo, exec_lo, s36
	s_mov_b32 s36, exec_lo
	v_cmpx_lt_i32_e64 v10, v24
	s_cbranch_execz .LBB39_33
; %bb.26:                               ;   in Loop: Header=BB39_9 Depth=2
	v_ashrrev_i32_e32 v11, 31, v10
	s_mov_b32 s38, 0
                                        ; implicit-def: $sgpr37
                                        ; implicit-def: $sgpr40
                                        ; implicit-def: $sgpr39
	s_delay_alu instid0(VALU_DEP_1) | instskip(NEXT) | instid1(VALU_DEP_1)
	v_lshlrev_b64 v[12:13], 2, v[10:11]
	v_add_co_u32 v12, vcc_lo, s16, v12
	s_delay_alu instid0(VALU_DEP_2)
	v_add_co_ci_u32_e32 v13, vcc_lo, s17, v13, vcc_lo
	s_set_inst_prefetch_distance 0x1
	s_branch .LBB39_28
	.p2align	6
.LBB39_27:                              ;   in Loop: Header=BB39_28 Depth=3
	s_or_b32 exec_lo, exec_lo, s41
	s_delay_alu instid0(SALU_CYCLE_1) | instskip(NEXT) | instid1(SALU_CYCLE_1)
	s_and_b32 s3, exec_lo, s40
	s_or_b32 s38, s3, s38
	s_and_not1_b32 s3, s37, exec_lo
	s_and_b32 s37, s39, exec_lo
	s_delay_alu instid0(SALU_CYCLE_1)
	s_or_b32 s37, s3, s37
	s_and_not1_b32 exec_lo, exec_lo, s38
	s_cbranch_execz .LBB39_30
.LBB39_28:                              ;   Parent Loop BB39_5 Depth=1
                                        ;     Parent Loop BB39_9 Depth=2
                                        ; =>    This Inner Loop Header: Depth=3
	global_load_b32 v16, v[12:13], off
	v_dual_mov_b32 v15, v11 :: v_dual_mov_b32 v14, v10
	s_or_b32 s39, s39, exec_lo
	s_or_b32 s40, s40, exec_lo
	s_mov_b32 s41, exec_lo
                                        ; implicit-def: $vgpr10_vgpr11
	s_waitcnt vmcnt(0)
	v_cmpx_ne_u32_e64 v16, v26
	s_cbranch_execz .LBB39_27
; %bb.29:                               ;   in Loop: Header=BB39_28 Depth=3
	v_add_co_u32 v10, vcc_lo, v14, 1
	v_add_co_ci_u32_e32 v11, vcc_lo, 0, v15, vcc_lo
	v_add_co_u32 v12, s3, v12, 4
	s_delay_alu instid0(VALU_DEP_3) | instskip(SKIP_4) | instid1(SALU_CYCLE_1)
	v_cmp_ge_i32_e32 vcc_lo, v10, v24
	v_add_co_ci_u32_e64 v13, s3, 0, v13, s3
	s_and_not1_b32 s3, s40, exec_lo
	s_and_not1_b32 s39, s39, exec_lo
	s_and_b32 s40, vcc_lo, exec_lo
	s_or_b32 s40, s3, s40
	s_branch .LBB39_27
.LBB39_30:                              ;   in Loop: Header=BB39_9 Depth=2
	s_set_inst_prefetch_distance 0x2
	s_or_b32 exec_lo, exec_lo, s38
	s_and_saveexec_b32 s3, s37
	s_delay_alu instid0(SALU_CYCLE_1)
	s_xor_b32 s3, exec_lo, s3
	s_cbranch_execz .LBB39_32
; %bb.31:                               ;   in Loop: Header=BB39_9 Depth=2
	v_lshlrev_b64 v[10:11], 3, v[14:15]
	s_delay_alu instid0(VALU_DEP_1) | instskip(NEXT) | instid1(VALU_DEP_2)
	v_add_co_u32 v10, vcc_lo, s10, v10
	v_add_co_ci_u32_e32 v11, vcc_lo, s11, v11, vcc_lo
	global_load_b64 v[10:11], v[10:11], off
	s_waitcnt vmcnt(0)
	v_fmac_f32_e32 v27, v10, v8
	v_fmac_f32_e32 v28, v11, v8
	s_delay_alu instid0(VALU_DEP_2) | instskip(NEXT) | instid1(VALU_DEP_2)
	v_fma_f32 v27, -v11, v9, v27
	v_fmac_f32_e32 v28, v10, v9
.LBB39_32:                              ;   in Loop: Header=BB39_9 Depth=2
	s_or_b32 exec_lo, exec_lo, s3
.LBB39_33:                              ;   in Loop: Header=BB39_9 Depth=2
	s_delay_alu instid0(SALU_CYCLE_1) | instskip(SKIP_1) | instid1(VALU_DEP_1)
	s_or_b32 exec_lo, exec_lo, s36
	s_waitcnt vmcnt(0)
	v_dual_add_f32 v8, v8, v27 :: v_dual_add_f32 v9, v9, v28
	v_cmp_eq_u32_e32 vcc_lo, v1, v7
	s_mov_b32 s3, exec_lo
	s_delay_alu instid0(VALU_DEP_2) | instskip(NEXT) | instid1(VALU_DEP_1)
	v_dual_cndmask_b32 v10, v28, v9 :: v_dual_cndmask_b32 v7, v27, v8
	v_cmp_gt_f32_e32 vcc_lo, 0, v7
	v_cndmask_b32_e64 v8, v7, -v7, vcc_lo
	s_delay_alu instid0(VALU_DEP_3) | instskip(SKIP_1) | instid1(VALU_DEP_1)
	v_cmp_gt_f32_e32 vcc_lo, 0, v10
                                        ; implicit-def: $vgpr7
	v_cndmask_b32_e64 v9, v10, -v10, vcc_lo
	v_cmpx_ngt_f32_e32 v8, v9
	s_xor_b32 s36, exec_lo, s3
	s_cbranch_execz .LBB39_37
; %bb.34:                               ;   in Loop: Header=BB39_9 Depth=2
	v_mov_b32_e32 v7, 0
	s_mov_b32 s37, exec_lo
	v_cmpx_neq_f32_e32 0, v10
	s_cbranch_execz .LBB39_36
; %bb.35:                               ;   in Loop: Header=BB39_9 Depth=2
	v_div_scale_f32 v7, null, v9, v9, v8
	v_div_scale_f32 v12, vcc_lo, v8, v9, v8
	s_delay_alu instid0(VALU_DEP_2) | instskip(SKIP_2) | instid1(VALU_DEP_1)
	v_rcp_f32_e32 v10, v7
	s_waitcnt_depctr 0xfff
	v_fma_f32 v11, -v7, v10, 1.0
	v_fmac_f32_e32 v10, v11, v10
	s_delay_alu instid0(VALU_DEP_1) | instskip(NEXT) | instid1(VALU_DEP_1)
	v_mul_f32_e32 v11, v12, v10
	v_fma_f32 v13, -v7, v11, v12
	s_delay_alu instid0(VALU_DEP_1) | instskip(NEXT) | instid1(VALU_DEP_1)
	v_fmac_f32_e32 v11, v13, v10
	v_fma_f32 v7, -v7, v11, v12
	s_delay_alu instid0(VALU_DEP_1) | instskip(NEXT) | instid1(VALU_DEP_1)
	v_div_fmas_f32 v7, v7, v10, v11
	v_div_fixup_f32 v7, v7, v9, v8
	s_delay_alu instid0(VALU_DEP_1) | instskip(NEXT) | instid1(VALU_DEP_1)
	v_fma_f32 v7, v7, v7, 1.0
	v_mul_f32_e32 v8, 0x4f800000, v7
	v_cmp_gt_f32_e32 vcc_lo, 0xf800000, v7
	s_delay_alu instid0(VALU_DEP_2) | instskip(NEXT) | instid1(VALU_DEP_1)
	v_cndmask_b32_e32 v7, v7, v8, vcc_lo
	v_sqrt_f32_e32 v8, v7
	s_waitcnt_depctr 0xfff
	v_add_nc_u32_e32 v10, -1, v8
	v_add_nc_u32_e32 v11, 1, v8
	s_delay_alu instid0(VALU_DEP_2) | instskip(NEXT) | instid1(VALU_DEP_2)
	v_fma_f32 v12, -v10, v8, v7
	v_fma_f32 v13, -v11, v8, v7
	s_delay_alu instid0(VALU_DEP_2) | instskip(NEXT) | instid1(VALU_DEP_1)
	v_cmp_ge_f32_e64 s3, 0, v12
	v_cndmask_b32_e64 v8, v8, v10, s3
	s_delay_alu instid0(VALU_DEP_3) | instskip(NEXT) | instid1(VALU_DEP_1)
	v_cmp_lt_f32_e64 s3, 0, v13
	v_cndmask_b32_e64 v8, v8, v11, s3
	s_delay_alu instid0(VALU_DEP_1) | instskip(NEXT) | instid1(VALU_DEP_1)
	v_mul_f32_e32 v10, 0x37800000, v8
	v_cndmask_b32_e32 v8, v8, v10, vcc_lo
	v_cmp_class_f32_e64 vcc_lo, v7, 0x260
	s_delay_alu instid0(VALU_DEP_2) | instskip(NEXT) | instid1(VALU_DEP_1)
	v_cndmask_b32_e32 v7, v8, v7, vcc_lo
	v_mul_f32_e32 v7, v9, v7
.LBB39_36:                              ;   in Loop: Header=BB39_9 Depth=2
	s_or_b32 exec_lo, exec_lo, s37
                                        ; implicit-def: $vgpr8
                                        ; implicit-def: $vgpr9
.LBB39_37:                              ;   in Loop: Header=BB39_9 Depth=2
	s_and_not1_saveexec_b32 s36, s36
	s_cbranch_execz .LBB39_39
; %bb.38:                               ;   in Loop: Header=BB39_9 Depth=2
	v_div_scale_f32 v7, null, v8, v8, v9
	v_div_scale_f32 v12, vcc_lo, v9, v8, v9
	s_delay_alu instid0(VALU_DEP_2) | instskip(SKIP_2) | instid1(VALU_DEP_1)
	v_rcp_f32_e32 v10, v7
	s_waitcnt_depctr 0xfff
	v_fma_f32 v11, -v7, v10, 1.0
	v_fmac_f32_e32 v10, v11, v10
	s_delay_alu instid0(VALU_DEP_1) | instskip(NEXT) | instid1(VALU_DEP_1)
	v_mul_f32_e32 v11, v12, v10
	v_fma_f32 v13, -v7, v11, v12
	s_delay_alu instid0(VALU_DEP_1) | instskip(NEXT) | instid1(VALU_DEP_1)
	v_fmac_f32_e32 v11, v13, v10
	v_fma_f32 v7, -v7, v11, v12
	s_delay_alu instid0(VALU_DEP_1) | instskip(NEXT) | instid1(VALU_DEP_1)
	v_div_fmas_f32 v7, v7, v10, v11
	v_div_fixup_f32 v7, v7, v8, v9
	s_delay_alu instid0(VALU_DEP_1) | instskip(NEXT) | instid1(VALU_DEP_1)
	v_fma_f32 v7, v7, v7, 1.0
	v_mul_f32_e32 v9, 0x4f800000, v7
	v_cmp_gt_f32_e32 vcc_lo, 0xf800000, v7
	s_delay_alu instid0(VALU_DEP_2) | instskip(NEXT) | instid1(VALU_DEP_1)
	v_cndmask_b32_e32 v7, v7, v9, vcc_lo
	v_sqrt_f32_e32 v9, v7
	s_waitcnt_depctr 0xfff
	v_add_nc_u32_e32 v10, -1, v9
	v_add_nc_u32_e32 v11, 1, v9
	s_delay_alu instid0(VALU_DEP_2) | instskip(NEXT) | instid1(VALU_DEP_2)
	v_fma_f32 v12, -v10, v9, v7
	v_fma_f32 v13, -v11, v9, v7
	s_delay_alu instid0(VALU_DEP_2) | instskip(NEXT) | instid1(VALU_DEP_1)
	v_cmp_ge_f32_e64 s3, 0, v12
	v_cndmask_b32_e64 v9, v9, v10, s3
	s_delay_alu instid0(VALU_DEP_3) | instskip(NEXT) | instid1(VALU_DEP_1)
	v_cmp_lt_f32_e64 s3, 0, v13
	v_cndmask_b32_e64 v9, v9, v11, s3
	s_delay_alu instid0(VALU_DEP_1) | instskip(NEXT) | instid1(VALU_DEP_1)
	v_mul_f32_e32 v10, 0x37800000, v9
	v_cndmask_b32_e32 v9, v9, v10, vcc_lo
	v_cmp_class_f32_e64 vcc_lo, v7, 0x260
	s_delay_alu instid0(VALU_DEP_2) | instskip(NEXT) | instid1(VALU_DEP_1)
	v_cndmask_b32_e32 v7, v9, v7, vcc_lo
	v_mul_f32_e32 v7, v8, v7
.LBB39_39:                              ;   in Loop: Header=BB39_9 Depth=2
	s_or_b32 exec_lo, exec_lo, s36
	v_cmp_gt_f32_e32 vcc_lo, 0, v5
                                        ; implicit-def: $vgpr10
	s_mov_b32 s3, exec_lo
	v_cndmask_b32_e64 v8, v5, -v5, vcc_lo
	v_cmp_gt_f32_e32 vcc_lo, 0, v6
	v_cndmask_b32_e64 v9, v6, -v6, vcc_lo
	s_delay_alu instid0(VALU_DEP_1)
	v_cmpx_ngt_f32_e32 v8, v9
	s_xor_b32 s36, exec_lo, s3
	s_cbranch_execnz .LBB39_42
; %bb.40:                               ;   in Loop: Header=BB39_9 Depth=2
	s_and_not1_saveexec_b32 s36, s36
	s_cbranch_execnz .LBB39_45
.LBB39_41:                              ;   in Loop: Header=BB39_9 Depth=2
	s_or_b32 exec_lo, exec_lo, s36
	v_cmp_class_f32_e64 s36, v10, 0x1f8
	s_delay_alu instid0(VALU_DEP_1)
	s_and_saveexec_b32 s3, s36
	s_cbranch_execz .LBB39_8
	s_branch .LBB39_46
.LBB39_42:                              ;   in Loop: Header=BB39_9 Depth=2
	v_mov_b32_e32 v10, 0
	s_mov_b32 s37, exec_lo
	v_cmpx_neq_f32_e32 0, v6
	s_cbranch_execz .LBB39_44
; %bb.43:                               ;   in Loop: Header=BB39_9 Depth=2
	v_div_scale_f32 v10, null, v9, v9, v8
	v_div_scale_f32 v13, vcc_lo, v8, v9, v8
	s_delay_alu instid0(VALU_DEP_2) | instskip(SKIP_2) | instid1(VALU_DEP_1)
	v_rcp_f32_e32 v11, v10
	s_waitcnt_depctr 0xfff
	v_fma_f32 v12, -v10, v11, 1.0
	v_fmac_f32_e32 v11, v12, v11
	s_delay_alu instid0(VALU_DEP_1) | instskip(NEXT) | instid1(VALU_DEP_1)
	v_mul_f32_e32 v12, v13, v11
	v_fma_f32 v14, -v10, v12, v13
	s_delay_alu instid0(VALU_DEP_1) | instskip(NEXT) | instid1(VALU_DEP_1)
	v_fmac_f32_e32 v12, v14, v11
	v_fma_f32 v10, -v10, v12, v13
	s_delay_alu instid0(VALU_DEP_1) | instskip(NEXT) | instid1(VALU_DEP_1)
	v_div_fmas_f32 v10, v10, v11, v12
	v_div_fixup_f32 v8, v10, v9, v8
	s_delay_alu instid0(VALU_DEP_1) | instskip(NEXT) | instid1(VALU_DEP_1)
	v_fma_f32 v8, v8, v8, 1.0
	v_mul_f32_e32 v10, 0x4f800000, v8
	v_cmp_gt_f32_e32 vcc_lo, 0xf800000, v8
	s_delay_alu instid0(VALU_DEP_2) | instskip(NEXT) | instid1(VALU_DEP_1)
	v_cndmask_b32_e32 v8, v8, v10, vcc_lo
	v_sqrt_f32_e32 v10, v8
	s_waitcnt_depctr 0xfff
	v_add_nc_u32_e32 v11, -1, v10
	v_add_nc_u32_e32 v12, 1, v10
	s_delay_alu instid0(VALU_DEP_2) | instskip(NEXT) | instid1(VALU_DEP_2)
	v_fma_f32 v13, -v11, v10, v8
	v_fma_f32 v14, -v12, v10, v8
	s_delay_alu instid0(VALU_DEP_2) | instskip(NEXT) | instid1(VALU_DEP_1)
	v_cmp_ge_f32_e64 s3, 0, v13
	v_cndmask_b32_e64 v10, v10, v11, s3
	s_delay_alu instid0(VALU_DEP_3) | instskip(NEXT) | instid1(VALU_DEP_1)
	v_cmp_lt_f32_e64 s3, 0, v14
	v_cndmask_b32_e64 v10, v10, v12, s3
	s_delay_alu instid0(VALU_DEP_1) | instskip(NEXT) | instid1(VALU_DEP_1)
	v_mul_f32_e32 v11, 0x37800000, v10
	v_cndmask_b32_e32 v10, v10, v11, vcc_lo
	v_cmp_class_f32_e64 vcc_lo, v8, 0x260
	s_delay_alu instid0(VALU_DEP_2) | instskip(NEXT) | instid1(VALU_DEP_1)
	v_cndmask_b32_e32 v8, v10, v8, vcc_lo
	v_mul_f32_e32 v10, v9, v8
.LBB39_44:                              ;   in Loop: Header=BB39_9 Depth=2
	s_or_b32 exec_lo, exec_lo, s37
                                        ; implicit-def: $vgpr8
                                        ; implicit-def: $vgpr9
	s_and_not1_saveexec_b32 s36, s36
	s_cbranch_execz .LBB39_41
.LBB39_45:                              ;   in Loop: Header=BB39_9 Depth=2
	v_div_scale_f32 v10, null, v8, v8, v9
	v_div_scale_f32 v13, vcc_lo, v9, v8, v9
	s_delay_alu instid0(VALU_DEP_2) | instskip(SKIP_2) | instid1(VALU_DEP_1)
	v_rcp_f32_e32 v11, v10
	s_waitcnt_depctr 0xfff
	v_fma_f32 v12, -v10, v11, 1.0
	v_fmac_f32_e32 v11, v12, v11
	s_delay_alu instid0(VALU_DEP_1) | instskip(NEXT) | instid1(VALU_DEP_1)
	v_mul_f32_e32 v12, v13, v11
	v_fma_f32 v14, -v10, v12, v13
	s_delay_alu instid0(VALU_DEP_1) | instskip(NEXT) | instid1(VALU_DEP_1)
	v_fmac_f32_e32 v12, v14, v11
	v_fma_f32 v10, -v10, v12, v13
	s_delay_alu instid0(VALU_DEP_1) | instskip(NEXT) | instid1(VALU_DEP_1)
	v_div_fmas_f32 v10, v10, v11, v12
	v_div_fixup_f32 v9, v10, v8, v9
	s_delay_alu instid0(VALU_DEP_1) | instskip(NEXT) | instid1(VALU_DEP_1)
	v_fma_f32 v9, v9, v9, 1.0
	v_mul_f32_e32 v10, 0x4f800000, v9
	v_cmp_gt_f32_e32 vcc_lo, 0xf800000, v9
	s_delay_alu instid0(VALU_DEP_2) | instskip(NEXT) | instid1(VALU_DEP_1)
	v_cndmask_b32_e32 v9, v9, v10, vcc_lo
	v_sqrt_f32_e32 v10, v9
	s_waitcnt_depctr 0xfff
	v_add_nc_u32_e32 v11, -1, v10
	v_add_nc_u32_e32 v12, 1, v10
	s_delay_alu instid0(VALU_DEP_2) | instskip(NEXT) | instid1(VALU_DEP_2)
	v_fma_f32 v13, -v11, v10, v9
	v_fma_f32 v14, -v12, v10, v9
	s_delay_alu instid0(VALU_DEP_2) | instskip(NEXT) | instid1(VALU_DEP_1)
	v_cmp_ge_f32_e64 s3, 0, v13
	v_cndmask_b32_e64 v10, v10, v11, s3
	s_delay_alu instid0(VALU_DEP_3) | instskip(NEXT) | instid1(VALU_DEP_1)
	v_cmp_lt_f32_e64 s3, 0, v14
	v_cndmask_b32_e64 v10, v10, v12, s3
	s_delay_alu instid0(VALU_DEP_1) | instskip(NEXT) | instid1(VALU_DEP_1)
	v_mul_f32_e32 v11, 0x37800000, v10
	v_cndmask_b32_e32 v10, v10, v11, vcc_lo
	v_cmp_class_f32_e64 vcc_lo, v9, 0x260
	s_delay_alu instid0(VALU_DEP_2) | instskip(NEXT) | instid1(VALU_DEP_1)
	v_cndmask_b32_e32 v9, v10, v9, vcc_lo
	v_mul_f32_e32 v10, v8, v9
	s_or_b32 exec_lo, exec_lo, s36
	s_delay_alu instid0(VALU_DEP_1) | instskip(NEXT) | instid1(VALU_DEP_1)
	v_cmp_class_f32_e64 s36, v10, 0x1f8
	s_and_saveexec_b32 s3, s36
	s_cbranch_execz .LBB39_8
.LBB39_46:                              ;   in Loop: Header=BB39_9 Depth=2
	v_add_co_u32 v3, vcc_lo, s10, v3
	v_add_co_ci_u32_e32 v4, vcc_lo, s11, v4, vcc_lo
	global_store_b64 v[3:4], v[5:6], off
	s_branch .LBB39_8
.LBB39_47:
	s_or_b32 exec_lo, exec_lo, s29
	v_mbcnt_lo_u32_b32 v1, -1, 0
	s_mov_b32 s2, exec_lo
	s_delay_alu instid0(VALU_DEP_1) | instskip(NEXT) | instid1(VALU_DEP_1)
	v_xor_b32_e32 v2, 1, v1
	v_cmp_gt_i32_e32 vcc_lo, 32, v2
	v_cndmask_b32_e32 v1, v1, v2, vcc_lo
	s_delay_alu instid0(VALU_DEP_1)
	v_lshlrev_b32_e32 v1, 2, v1
	ds_bpermute_b32 v1, v1, v21
	v_cmpx_ne_u32_e32 0, v19
	s_cbranch_execz .LBB39_49
; %bb.48:
	s_waitcnt lgkmcnt(0)
	v_cmp_lt_f32_e32 vcc_lo, v21, v1
	v_dual_cndmask_b32 v1, v21, v1 :: v_dual_lshlrev_b32 v2, 2, v18
	ds_store_b32 v2, v1
.LBB39_49:
	s_or_b32 exec_lo, exec_lo, s2
	s_waitcnt lgkmcnt(0)
	v_lshlrev_b32_e32 v1, 2, v0
	s_mov_b32 s2, exec_lo
	s_waitcnt_vscnt null, 0x0
	s_barrier
	buffer_gl0_inv
	v_cmpx_gt_u32_e32 0x100, v0
	s_cbranch_execz .LBB39_51
; %bb.50:
	ds_load_2addr_stride64_b32 v[2:3], v1 offset1:4
	s_waitcnt lgkmcnt(0)
	v_cmp_lt_f32_e32 vcc_lo, v2, v3
	v_cndmask_b32_e32 v2, v2, v3, vcc_lo
	ds_store_b32 v1, v2
.LBB39_51:
	s_or_b32 exec_lo, exec_lo, s2
	s_delay_alu instid0(SALU_CYCLE_1)
	s_mov_b32 s2, exec_lo
	s_waitcnt lgkmcnt(0)
	s_barrier
	buffer_gl0_inv
	v_cmpx_gt_u32_e32 0x80, v0
	s_cbranch_execz .LBB39_53
; %bb.52:
	ds_load_2addr_stride64_b32 v[2:3], v1 offset1:2
	s_waitcnt lgkmcnt(0)
	v_cmp_lt_f32_e32 vcc_lo, v2, v3
	v_cndmask_b32_e32 v2, v2, v3, vcc_lo
	ds_store_b32 v1, v2
.LBB39_53:
	s_or_b32 exec_lo, exec_lo, s2
	s_delay_alu instid0(SALU_CYCLE_1)
	s_mov_b32 s2, exec_lo
	s_waitcnt lgkmcnt(0)
	;; [unrolled: 15-line block ×3, first 2 shown]
	s_barrier
	buffer_gl0_inv
	v_cmpx_gt_u32_e32 32, v0
	s_cbranch_execz .LBB39_57
; %bb.56:
	ds_load_2addr_b32 v[2:3], v1 offset1:32
	s_waitcnt lgkmcnt(0)
	v_cmp_lt_f32_e32 vcc_lo, v2, v3
	v_cndmask_b32_e32 v2, v2, v3, vcc_lo
	ds_store_b32 v1, v2
.LBB39_57:
	s_or_b32 exec_lo, exec_lo, s2
	s_delay_alu instid0(SALU_CYCLE_1)
	s_mov_b32 s2, exec_lo
	s_waitcnt lgkmcnt(0)
	s_barrier
	buffer_gl0_inv
	v_cmpx_gt_u32_e32 16, v0
	s_cbranch_execz .LBB39_59
; %bb.58:
	ds_load_2addr_b32 v[2:3], v1 offset1:16
	s_waitcnt lgkmcnt(0)
	v_cmp_lt_f32_e32 vcc_lo, v2, v3
	v_cndmask_b32_e32 v2, v2, v3, vcc_lo
	ds_store_b32 v1, v2
.LBB39_59:
	s_or_b32 exec_lo, exec_lo, s2
	s_delay_alu instid0(SALU_CYCLE_1)
	s_mov_b32 s2, exec_lo
	s_waitcnt lgkmcnt(0)
	;; [unrolled: 15-line block ×4, first 2 shown]
	s_barrier
	buffer_gl0_inv
	v_cmpx_gt_u32_e32 2, v0
	s_cbranch_execz .LBB39_65
; %bb.64:
	ds_load_2addr_b32 v[2:3], v1 offset1:2
	s_waitcnt lgkmcnt(0)
	v_cmp_lt_f32_e32 vcc_lo, v2, v3
	v_cndmask_b32_e32 v2, v2, v3, vcc_lo
	ds_store_b32 v1, v2
.LBB39_65:
	s_or_b32 exec_lo, exec_lo, s2
	v_cmp_eq_u32_e32 vcc_lo, 0, v0
	s_waitcnt lgkmcnt(0)
	s_barrier
	buffer_gl0_inv
	s_and_saveexec_b32 s3, vcc_lo
	s_cbranch_execz .LBB39_67
; %bb.66:
	v_mov_b32_e32 v2, 0
	ds_load_b64 v[0:1], v2
	s_waitcnt lgkmcnt(0)
	v_cmp_lt_f32_e64 s2, v0, v1
	s_delay_alu instid0(VALU_DEP_1)
	v_cndmask_b32_e64 v0, v0, v1, s2
	ds_store_b32 v2, v0
.LBB39_67:
	s_or_b32 exec_lo, exec_lo, s3
	s_waitcnt lgkmcnt(0)
	s_barrier
	buffer_gl0_inv
	s_and_saveexec_b32 s2, vcc_lo
	s_cbranch_execz .LBB39_72
; %bb.68:
	s_load_b128 s[4:7], s[0:1], 0x70
	v_mov_b32_e32 v2, 0
	s_mov_b32 s1, 0
                                        ; implicit-def: $sgpr2
                                        ; implicit-def: $sgpr3
	ds_load_b32 v0, v2
	s_waitcnt lgkmcnt(0)
	s_load_b32 s0, s[6:7], 0x0
	s_waitcnt lgkmcnt(0)
	v_div_scale_f32 v3, null, s0, s0, v0
	v_div_scale_f32 v6, vcc_lo, v0, s0, v0
	s_delay_alu instid0(VALU_DEP_2) | instskip(SKIP_2) | instid1(VALU_DEP_1)
	v_rcp_f32_e32 v4, v3
	s_waitcnt_depctr 0xfff
	v_fma_f32 v5, -v3, v4, 1.0
	v_fmac_f32_e32 v4, v5, v4
	s_delay_alu instid0(VALU_DEP_1) | instskip(SKIP_2) | instid1(VALU_DEP_1)
	v_mul_f32_e32 v5, v6, v4
	global_load_b32 v1, v2, s[4:5] glc
	v_fma_f32 v7, -v3, v5, v6
	v_fmac_f32_e32 v5, v7, v4
	s_delay_alu instid0(VALU_DEP_1) | instskip(NEXT) | instid1(VALU_DEP_1)
	v_fma_f32 v3, -v3, v5, v6
	v_div_fmas_f32 v3, v3, v4, v5
	s_delay_alu instid0(VALU_DEP_1) | instskip(NEXT) | instid1(VALU_DEP_1)
	v_div_fixup_f32 v0, v3, s0, v0
	v_cmp_eq_f32_e32 vcc_lo, 0, v0
	s_waitcnt vmcnt(0)
	v_cmp_eq_u32_e64 s6, 0x80000000, v1
	s_set_inst_prefetch_distance 0x1
	s_branch .LBB39_70
	.p2align	6
.LBB39_69:                              ;   in Loop: Header=BB39_70 Depth=1
	s_or_b32 exec_lo, exec_lo, s7
	s_delay_alu instid0(SALU_CYCLE_1) | instskip(NEXT) | instid1(SALU_CYCLE_1)
	s_and_b32 s0, exec_lo, s2
	s_or_b32 s1, s0, s1
	s_and_not1_b32 s0, s6, exec_lo
	s_and_b32 s6, s3, exec_lo
	s_delay_alu instid0(SALU_CYCLE_1)
	s_or_b32 s6, s0, s6
	s_and_not1_b32 exec_lo, exec_lo, s1
	s_cbranch_execz .LBB39_72
.LBB39_70:                              ; =>This Inner Loop Header: Depth=1
	v_cmp_lt_f32_e64 s0, v1, v0
	s_delay_alu instid0(VALU_DEP_2) | instskip(SKIP_2) | instid1(VALU_DEP_1)
	s_and_b32 s7, vcc_lo, s6
	s_and_not1_b32 s3, s3, exec_lo
	s_or_b32 s2, s2, exec_lo
	s_or_b32 s0, s0, s7
	s_delay_alu instid0(SALU_CYCLE_1)
	s_and_saveexec_b32 s7, s0
	s_cbranch_execz .LBB39_69
; %bb.71:                               ;   in Loop: Header=BB39_70 Depth=1
	global_atomic_cmpswap_b32 v3, v2, v[0:1], s[4:5] glc
	s_and_not1_b32 s3, s3, exec_lo
	s_and_not1_b32 s2, s2, exec_lo
	s_waitcnt vmcnt(0)
	v_cmp_eq_u32_e64 s0, v3, v1
	s_delay_alu instid0(VALU_DEP_1) | instskip(SKIP_1) | instid1(SALU_CYCLE_1)
	v_cndmask_b32_e64 v1, v3, v1, s0
	s_and_b32 s0, s0, exec_lo
	s_or_b32 s2, s2, s0
	s_delay_alu instid0(VALU_DEP_1) | instskip(SKIP_1) | instid1(VALU_DEP_2)
	v_cmp_class_f32_e64 s6, v1, 32
	v_mov_b32_e32 v1, v3
	s_and_b32 s6, s6, exec_lo
	s_delay_alu instid0(SALU_CYCLE_1)
	s_or_b32 s3, s3, s6
                                        ; implicit-def: $sgpr6
	s_branch .LBB39_69
.LBB39_72:
	s_set_inst_prefetch_distance 0x2
	s_endpgm
	.section	.rodata,"a",@progbits
	.p2align	6, 0x0
	.amdhsa_kernel _ZN9rocsparseL16kernel_calculateILi1024ELi2ELb1E21rocsparse_complex_numIfEiiEEvT4_T3_PKS4_S6_PKS3_PKT2_21rocsparse_index_base_S6_S6_S8_S6_S6_S8_S6_PS9_PNS_15floating_traitsIS9_E6data_tEPKSG_
		.amdhsa_group_segment_fixed_size 2048
		.amdhsa_private_segment_fixed_size 0
		.amdhsa_kernarg_size 128
		.amdhsa_user_sgpr_count 15
		.amdhsa_user_sgpr_dispatch_ptr 0
		.amdhsa_user_sgpr_queue_ptr 0
		.amdhsa_user_sgpr_kernarg_segment_ptr 1
		.amdhsa_user_sgpr_dispatch_id 0
		.amdhsa_user_sgpr_private_segment_size 0
		.amdhsa_wavefront_size32 1
		.amdhsa_uses_dynamic_stack 0
		.amdhsa_enable_private_segment 0
		.amdhsa_system_sgpr_workgroup_id_x 1
		.amdhsa_system_sgpr_workgroup_id_y 0
		.amdhsa_system_sgpr_workgroup_id_z 0
		.amdhsa_system_sgpr_workgroup_info 0
		.amdhsa_system_vgpr_workitem_id 0
		.amdhsa_next_free_vgpr 32
		.amdhsa_next_free_sgpr 42
		.amdhsa_reserve_vcc 1
		.amdhsa_float_round_mode_32 0
		.amdhsa_float_round_mode_16_64 0
		.amdhsa_float_denorm_mode_32 3
		.amdhsa_float_denorm_mode_16_64 3
		.amdhsa_dx10_clamp 1
		.amdhsa_ieee_mode 1
		.amdhsa_fp16_overflow 0
		.amdhsa_workgroup_processor_mode 1
		.amdhsa_memory_ordered 1
		.amdhsa_forward_progress 0
		.amdhsa_shared_vgpr_count 0
		.amdhsa_exception_fp_ieee_invalid_op 0
		.amdhsa_exception_fp_denorm_src 0
		.amdhsa_exception_fp_ieee_div_zero 0
		.amdhsa_exception_fp_ieee_overflow 0
		.amdhsa_exception_fp_ieee_underflow 0
		.amdhsa_exception_fp_ieee_inexact 0
		.amdhsa_exception_int_div_zero 0
	.end_amdhsa_kernel
	.section	.text._ZN9rocsparseL16kernel_calculateILi1024ELi2ELb1E21rocsparse_complex_numIfEiiEEvT4_T3_PKS4_S6_PKS3_PKT2_21rocsparse_index_base_S6_S6_S8_S6_S6_S8_S6_PS9_PNS_15floating_traitsIS9_E6data_tEPKSG_,"axG",@progbits,_ZN9rocsparseL16kernel_calculateILi1024ELi2ELb1E21rocsparse_complex_numIfEiiEEvT4_T3_PKS4_S6_PKS3_PKT2_21rocsparse_index_base_S6_S6_S8_S6_S6_S8_S6_PS9_PNS_15floating_traitsIS9_E6data_tEPKSG_,comdat
.Lfunc_end39:
	.size	_ZN9rocsparseL16kernel_calculateILi1024ELi2ELb1E21rocsparse_complex_numIfEiiEEvT4_T3_PKS4_S6_PKS3_PKT2_21rocsparse_index_base_S6_S6_S8_S6_S6_S8_S6_PS9_PNS_15floating_traitsIS9_E6data_tEPKSG_, .Lfunc_end39-_ZN9rocsparseL16kernel_calculateILi1024ELi2ELb1E21rocsparse_complex_numIfEiiEEvT4_T3_PKS4_S6_PKS3_PKT2_21rocsparse_index_base_S6_S6_S8_S6_S6_S8_S6_PS9_PNS_15floating_traitsIS9_E6data_tEPKSG_
                                        ; -- End function
	.section	.AMDGPU.csdata,"",@progbits
; Kernel info:
; codeLenInByte = 4080
; NumSgprs: 44
; NumVgprs: 32
; ScratchSize: 0
; MemoryBound: 0
; FloatMode: 240
; IeeeMode: 1
; LDSByteSize: 2048 bytes/workgroup (compile time only)
; SGPRBlocks: 5
; VGPRBlocks: 3
; NumSGPRsForWavesPerEU: 44
; NumVGPRsForWavesPerEU: 32
; Occupancy: 16
; WaveLimiterHint : 1
; COMPUTE_PGM_RSRC2:SCRATCH_EN: 0
; COMPUTE_PGM_RSRC2:USER_SGPR: 15
; COMPUTE_PGM_RSRC2:TRAP_HANDLER: 0
; COMPUTE_PGM_RSRC2:TGID_X_EN: 1
; COMPUTE_PGM_RSRC2:TGID_Y_EN: 0
; COMPUTE_PGM_RSRC2:TGID_Z_EN: 0
; COMPUTE_PGM_RSRC2:TIDIG_COMP_CNT: 0
	.section	.text._ZN9rocsparseL16kernel_calculateILi1024ELi4ELb1E21rocsparse_complex_numIfEiiEEvT4_T3_PKS4_S6_PKS3_PKT2_21rocsparse_index_base_S6_S6_S8_S6_S6_S8_S6_PS9_PNS_15floating_traitsIS9_E6data_tEPKSG_,"axG",@progbits,_ZN9rocsparseL16kernel_calculateILi1024ELi4ELb1E21rocsparse_complex_numIfEiiEEvT4_T3_PKS4_S6_PKS3_PKT2_21rocsparse_index_base_S6_S6_S8_S6_S6_S8_S6_PS9_PNS_15floating_traitsIS9_E6data_tEPKSG_,comdat
	.globl	_ZN9rocsparseL16kernel_calculateILi1024ELi4ELb1E21rocsparse_complex_numIfEiiEEvT4_T3_PKS4_S6_PKS3_PKT2_21rocsparse_index_base_S6_S6_S8_S6_S6_S8_S6_PS9_PNS_15floating_traitsIS9_E6data_tEPKSG_ ; -- Begin function _ZN9rocsparseL16kernel_calculateILi1024ELi4ELb1E21rocsparse_complex_numIfEiiEEvT4_T3_PKS4_S6_PKS3_PKT2_21rocsparse_index_base_S6_S6_S8_S6_S6_S8_S6_PS9_PNS_15floating_traitsIS9_E6data_tEPKSG_
	.p2align	8
	.type	_ZN9rocsparseL16kernel_calculateILi1024ELi4ELb1E21rocsparse_complex_numIfEiiEEvT4_T3_PKS4_S6_PKS3_PKT2_21rocsparse_index_base_S6_S6_S8_S6_S6_S8_S6_PS9_PNS_15floating_traitsIS9_E6data_tEPKSG_,@function
_ZN9rocsparseL16kernel_calculateILi1024ELi4ELb1E21rocsparse_complex_numIfEiiEEvT4_T3_PKS4_S6_PKS3_PKT2_21rocsparse_index_base_S6_S6_S8_S6_S6_S8_S6_PS9_PNS_15floating_traitsIS9_E6data_tEPKSG_: ; @_ZN9rocsparseL16kernel_calculateILi1024ELi4ELb1E21rocsparse_complex_numIfEiiEEvT4_T3_PKS4_S6_PKS3_PKT2_21rocsparse_index_base_S6_S6_S8_S6_S6_S8_S6_PS9_PNS_15floating_traitsIS9_E6data_tEPKSG_
; %bb.0:
	s_load_b32 s28, s[0:1], 0x0
	v_lshrrev_b32_e32 v18, 2, v0
	v_and_b32_e32 v19, 3, v0
	v_mov_b32_e32 v21, 0
	s_mov_b32 s29, exec_lo
	s_delay_alu instid0(VALU_DEP_3) | instskip(SKIP_1) | instid1(VALU_DEP_1)
	v_lshl_or_b32 v20, s15, 10, v18
	s_waitcnt lgkmcnt(0)
	v_cmpx_gt_i32_e64 s28, v20
	s_cbranch_execz .LBB40_47
; %bb.1:
	s_clause 0x3
	s_load_b32 s30, s[0:1], 0x28
	s_load_b256 s[4:11], s[0:1], 0x50
	s_load_b256 s[12:19], s[0:1], 0x30
	;; [unrolled: 1-line block ×3, first 2 shown]
	v_mov_b32_e32 v21, 0
	s_mov_b32 s31, 0
	s_waitcnt lgkmcnt(0)
	v_subrev_nc_u32_e32 v22, s30, v19
	s_branch .LBB40_5
.LBB40_2:                               ;   in Loop: Header=BB40_5 Depth=1
	s_or_b32 exec_lo, exec_lo, s35
.LBB40_3:                               ;   in Loop: Header=BB40_5 Depth=1
	s_delay_alu instid0(SALU_CYCLE_1)
	s_or_b32 exec_lo, exec_lo, s34
.LBB40_4:                               ;   in Loop: Header=BB40_5 Depth=1
	s_delay_alu instid0(SALU_CYCLE_1) | instskip(SKIP_1) | instid1(SALU_CYCLE_1)
	s_or_b32 exec_lo, exec_lo, s33
	s_add_i32 s31, s31, 1
	s_cmp_lg_u32 s31, 4
	s_cbranch_scc0 .LBB40_47
.LBB40_5:                               ; =>This Loop Header: Depth=1
                                        ;     Child Loop BB40_9 Depth 2
                                        ;       Child Loop BB40_12 Depth 3
                                        ;       Child Loop BB40_20 Depth 3
                                        ;       Child Loop BB40_28 Depth 3
	v_lshl_add_u32 v1, s31, 8, v20
	s_mov_b32 s33, exec_lo
	s_delay_alu instid0(VALU_DEP_1)
	v_cmpx_gt_i32_e64 s28, v1
	s_cbranch_execz .LBB40_4
; %bb.6:                                ;   in Loop: Header=BB40_5 Depth=1
	v_ashrrev_i32_e32 v2, 31, v1
	s_mov_b32 s34, exec_lo
	s_delay_alu instid0(VALU_DEP_1) | instskip(NEXT) | instid1(VALU_DEP_1)
	v_lshlrev_b64 v[3:4], 2, v[1:2]
	v_add_co_u32 v5, vcc_lo, s22, v3
	s_delay_alu instid0(VALU_DEP_2)
	v_add_co_ci_u32_e32 v6, vcc_lo, s23, v4, vcc_lo
	v_add_co_u32 v7, vcc_lo, s20, v3
	v_add_co_ci_u32_e32 v8, vcc_lo, s21, v4, vcc_lo
	global_load_b32 v2, v[5:6], off
	global_load_b32 v5, v[7:8], off
	s_waitcnt vmcnt(1)
	v_subrev_nc_u32_e32 v23, s30, v2
	s_waitcnt vmcnt(0)
	v_add_nc_u32_e32 v2, v22, v5
	s_delay_alu instid0(VALU_DEP_1)
	v_cmpx_lt_i32_e64 v2, v23
	s_cbranch_execz .LBB40_3
; %bb.7:                                ;   in Loop: Header=BB40_5 Depth=1
	v_add_co_u32 v5, vcc_lo, s14, v3
	v_add_co_ci_u32_e32 v6, vcc_lo, s15, v4, vcc_lo
	v_add_co_u32 v3, vcc_lo, s12, v3
	v_add_co_ci_u32_e32 v4, vcc_lo, s13, v4, vcc_lo
	s_mov_b32 s35, 0
	global_load_b32 v5, v[5:6], off
	global_load_b32 v3, v[3:4], off
	s_waitcnt vmcnt(1)
	v_subrev_nc_u32_e32 v24, s30, v5
	s_waitcnt vmcnt(0)
	v_subrev_nc_u32_e32 v25, s30, v3
	v_cmp_lt_i32_e64 s2, v3, v5
	s_branch .LBB40_9
.LBB40_8:                               ;   in Loop: Header=BB40_9 Depth=2
	s_or_b32 exec_lo, exec_lo, s3
	v_cmp_nlg_f32_e64 s36, 0x7f800000, |v7|
	v_cmp_gt_f32_e32 vcc_lo, v21, v7
	s_delay_alu instid0(VALU_DEP_2) | instskip(SKIP_1) | instid1(VALU_DEP_1)
	s_or_b32 vcc_lo, s36, vcc_lo
	v_dual_cndmask_b32 v21, v7, v21 :: v_dual_add_nc_u32 v2, 4, v2
	v_cmp_ge_i32_e64 s3, v2, v23
	s_delay_alu instid0(VALU_DEP_1) | instskip(NEXT) | instid1(SALU_CYCLE_1)
	s_or_b32 s35, s3, s35
	s_and_not1_b32 exec_lo, exec_lo, s35
	s_cbranch_execz .LBB40_2
.LBB40_9:                               ;   Parent Loop BB40_5 Depth=1
                                        ; =>  This Loop Header: Depth=2
                                        ;       Child Loop BB40_12 Depth 3
                                        ;       Child Loop BB40_20 Depth 3
	;; [unrolled: 1-line block ×3, first 2 shown]
	v_ashrrev_i32_e32 v3, 31, v2
	v_dual_mov_b32 v16, 0 :: v_dual_mov_b32 v17, 0
	s_delay_alu instid0(VALU_DEP_2) | instskip(NEXT) | instid1(VALU_DEP_1)
	v_lshlrev_b64 v[4:5], 2, v[2:3]
	v_add_co_u32 v4, vcc_lo, s24, v4
	s_delay_alu instid0(VALU_DEP_2) | instskip(SKIP_4) | instid1(VALU_DEP_1)
	v_add_co_ci_u32_e32 v5, vcc_lo, s25, v5, vcc_lo
	global_load_b32 v26, v[4:5], off
	v_lshlrev_b64 v[3:4], 3, v[2:3]
	s_waitcnt vmcnt(0)
	v_subrev_nc_u32_e32 v7, s30, v26
	v_ashrrev_i32_e32 v8, 31, v7
	s_delay_alu instid0(VALU_DEP_1) | instskip(NEXT) | instid1(VALU_DEP_1)
	v_lshlrev_b64 v[5:6], 2, v[7:8]
	v_add_co_u32 v8, vcc_lo, s14, v5
	s_delay_alu instid0(VALU_DEP_2)
	v_add_co_ci_u32_e32 v9, vcc_lo, s15, v6, vcc_lo
	v_add_co_u32 v10, vcc_lo, s4, v5
	v_add_co_ci_u32_e32 v11, vcc_lo, s5, v6, vcc_lo
	global_load_b32 v8, v[8:9], off
	v_add_co_u32 v5, vcc_lo, s18, v5
	v_add_co_ci_u32_e32 v6, vcc_lo, s19, v6, vcc_lo
	v_add_co_u32 v12, vcc_lo, s26, v3
	v_add_co_ci_u32_e32 v13, vcc_lo, s27, v4, vcc_lo
	global_load_b32 v10, v[10:11], off
	global_load_b32 v11, v[5:6], off
	s_waitcnt vmcnt(2)
	v_subrev_nc_u32_e32 v8, s30, v8
	s_delay_alu instid0(VALU_DEP_1) | instskip(SKIP_2) | instid1(VALU_DEP_2)
	v_ashrrev_i32_e32 v9, 31, v8
	s_waitcnt vmcnt(1)
	v_subrev_nc_u32_e32 v29, s30, v10
	v_lshlrev_b64 v[8:9], 3, v[8:9]
	s_delay_alu instid0(VALU_DEP_1) | instskip(NEXT) | instid1(VALU_DEP_2)
	v_add_co_u32 v5, vcc_lo, s10, v8
	v_add_co_ci_u32_e32 v6, vcc_lo, s11, v9, vcc_lo
	s_waitcnt vmcnt(0)
	v_cmp_lt_i32_e32 vcc_lo, v11, v10
	global_load_b64 v[14:15], v[12:13], off
	global_load_b64 v[8:9], v[5:6], off
	v_subrev_nc_u32_e32 v12, s30, v11
	v_mov_b32_e32 v10, v25
	s_and_b32 s3, s2, vcc_lo
	s_delay_alu instid0(SALU_CYCLE_1)
	s_and_saveexec_b32 s36, s3
	s_cbranch_execz .LBB40_15
; %bb.10:                               ;   in Loop: Header=BB40_9 Depth=2
	v_dual_mov_b32 v16, 0 :: v_dual_mov_b32 v17, 0
	v_mov_b32_e32 v10, v25
	s_mov_b32 s37, 0
	s_branch .LBB40_12
.LBB40_11:                              ;   in Loop: Header=BB40_12 Depth=3
	s_or_b32 exec_lo, exec_lo, s3
	v_cmp_le_i32_e32 vcc_lo, v13, v27
	v_add_co_ci_u32_e32 v10, vcc_lo, 0, v10, vcc_lo
	v_cmp_ge_i32_e32 vcc_lo, v13, v27
	v_add_co_ci_u32_e32 v12, vcc_lo, 0, v12, vcc_lo
	s_delay_alu instid0(VALU_DEP_3) | instskip(NEXT) | instid1(VALU_DEP_2)
	v_cmp_ge_i32_e32 vcc_lo, v10, v24
	v_cmp_ge_i32_e64 s3, v12, v29
	s_delay_alu instid0(VALU_DEP_1) | instskip(NEXT) | instid1(SALU_CYCLE_1)
	s_or_b32 s3, vcc_lo, s3
	s_and_b32 s3, exec_lo, s3
	s_delay_alu instid0(SALU_CYCLE_1) | instskip(NEXT) | instid1(SALU_CYCLE_1)
	s_or_b32 s37, s3, s37
	s_and_not1_b32 exec_lo, exec_lo, s37
	s_cbranch_execz .LBB40_14
.LBB40_12:                              ;   Parent Loop BB40_5 Depth=1
                                        ;     Parent Loop BB40_9 Depth=2
                                        ; =>    This Inner Loop Header: Depth=3
	s_delay_alu instid0(VALU_DEP_1) | instskip(SKIP_2) | instid1(VALU_DEP_2)
	v_ashrrev_i32_e32 v11, 31, v10
	v_ashrrev_i32_e32 v13, 31, v12
	s_mov_b32 s3, exec_lo
	v_lshlrev_b64 v[27:28], 2, v[10:11]
	s_delay_alu instid0(VALU_DEP_2) | instskip(NEXT) | instid1(VALU_DEP_2)
	v_lshlrev_b64 v[5:6], 2, v[12:13]
	v_add_co_u32 v27, vcc_lo, s16, v27
	s_delay_alu instid0(VALU_DEP_3) | instskip(NEXT) | instid1(VALU_DEP_3)
	v_add_co_ci_u32_e32 v28, vcc_lo, s17, v28, vcc_lo
	v_add_co_u32 v30, vcc_lo, s6, v5
	s_delay_alu instid0(VALU_DEP_4)
	v_add_co_ci_u32_e32 v31, vcc_lo, s7, v6, vcc_lo
	global_load_b32 v13, v[27:28], off
	global_load_b32 v27, v[30:31], off
	s_waitcnt vmcnt(0)
	v_cmpx_eq_u32_e64 v13, v27
	s_cbranch_execz .LBB40_11
; %bb.13:                               ;   in Loop: Header=BB40_12 Depth=3
	v_add_co_u32 v5, vcc_lo, s8, v5
	v_add_co_ci_u32_e32 v6, vcc_lo, s9, v6, vcc_lo
	v_lshlrev_b64 v[30:31], 3, v[10:11]
	global_load_b32 v5, v[5:6], off
	v_add_co_u32 v30, vcc_lo, s10, v30
	v_add_co_ci_u32_e32 v31, vcc_lo, s11, v31, vcc_lo
	s_waitcnt vmcnt(0)
	v_ashrrev_i32_e32 v6, 31, v5
	s_delay_alu instid0(VALU_DEP_1) | instskip(NEXT) | instid1(VALU_DEP_1)
	v_lshlrev_b64 v[5:6], 3, v[5:6]
	v_add_co_u32 v5, vcc_lo, s10, v5
	s_delay_alu instid0(VALU_DEP_2)
	v_add_co_ci_u32_e32 v6, vcc_lo, s11, v6, vcc_lo
	s_clause 0x1
	global_load_b64 v[30:31], v[30:31], off
	global_load_b64 v[5:6], v[5:6], off
	s_waitcnt vmcnt(0)
	v_fmac_f32_e32 v16, v30, v5
	v_fmac_f32_e32 v17, v31, v5
	s_delay_alu instid0(VALU_DEP_2) | instskip(NEXT) | instid1(VALU_DEP_2)
	v_fma_f32 v16, -v31, v6, v16
	v_fmac_f32_e32 v17, v30, v6
	s_branch .LBB40_11
.LBB40_14:                              ;   in Loop: Header=BB40_9 Depth=2
	s_or_b32 exec_lo, exec_lo, s37
.LBB40_15:                              ;   in Loop: Header=BB40_9 Depth=2
	s_delay_alu instid0(SALU_CYCLE_1)
	s_or_b32 exec_lo, exec_lo, s36
	s_waitcnt vmcnt(1)
	v_dual_sub_f32 v5, v14, v16 :: v_dual_sub_f32 v6, v15, v17
	s_mov_b32 s3, exec_lo
	v_cmpx_gt_i32_e64 v1, v7
	s_cbranch_execz .LBB40_17
; %bb.16:                               ;   in Loop: Header=BB40_9 Depth=2
	s_waitcnt vmcnt(0)
	v_mul_f32_e32 v11, v9, v9
	s_delay_alu instid0(VALU_DEP_1) | instskip(NEXT) | instid1(VALU_DEP_1)
	v_fmac_f32_e32 v11, v8, v8
	v_div_scale_f32 v13, null, v11, v11, 1.0
	v_div_scale_f32 v30, vcc_lo, 1.0, v11, 1.0
	s_delay_alu instid0(VALU_DEP_2) | instskip(SKIP_2) | instid1(VALU_DEP_1)
	v_rcp_f32_e32 v27, v13
	s_waitcnt_depctr 0xfff
	v_fma_f32 v28, -v13, v27, 1.0
	v_fmac_f32_e32 v27, v28, v27
	s_delay_alu instid0(VALU_DEP_1) | instskip(NEXT) | instid1(VALU_DEP_1)
	v_mul_f32_e32 v28, v30, v27
	v_fma_f32 v31, -v13, v28, v30
	s_delay_alu instid0(VALU_DEP_1) | instskip(NEXT) | instid1(VALU_DEP_1)
	v_fmac_f32_e32 v28, v31, v27
	v_fma_f32 v13, -v13, v28, v30
	s_delay_alu instid0(VALU_DEP_1) | instskip(SKIP_1) | instid1(VALU_DEP_2)
	v_div_fmas_f32 v13, v13, v27, v28
	v_mul_f32_e64 v28, v9, -v5
	v_div_fixup_f32 v11, v13, v11, 1.0
	s_delay_alu instid0(VALU_DEP_2) | instskip(NEXT) | instid1(VALU_DEP_1)
	v_dual_fmac_f32 v28, v6, v8 :: v_dual_mul_f32 v27, v9, v6
	v_mul_f32_e32 v6, v11, v28
	s_delay_alu instid0(VALU_DEP_2) | instskip(NEXT) | instid1(VALU_DEP_1)
	v_fmac_f32_e32 v27, v5, v8
	v_mul_f32_e32 v5, v11, v27
.LBB40_17:                              ;   in Loop: Header=BB40_9 Depth=2
	s_or_b32 exec_lo, exec_lo, s3
	v_dual_sub_f32 v27, v16, v14 :: v_dual_sub_f32 v28, v17, v15
	s_mov_b32 s36, exec_lo
	v_cmpx_lt_i32_e64 v12, v29
	s_cbranch_execz .LBB40_25
; %bb.18:                               ;   in Loop: Header=BB40_9 Depth=2
	v_ashrrev_i32_e32 v13, 31, v12
	s_mov_b32 s38, 0
                                        ; implicit-def: $sgpr37
                                        ; implicit-def: $sgpr40
                                        ; implicit-def: $sgpr39
	s_delay_alu instid0(VALU_DEP_1) | instskip(NEXT) | instid1(VALU_DEP_1)
	v_lshlrev_b64 v[14:15], 2, v[12:13]
	v_add_co_u32 v14, vcc_lo, s6, v14
	s_delay_alu instid0(VALU_DEP_2)
	v_add_co_ci_u32_e32 v15, vcc_lo, s7, v15, vcc_lo
	s_set_inst_prefetch_distance 0x1
	s_branch .LBB40_20
	.p2align	6
.LBB40_19:                              ;   in Loop: Header=BB40_20 Depth=3
	s_or_b32 exec_lo, exec_lo, s41
	s_delay_alu instid0(SALU_CYCLE_1) | instskip(NEXT) | instid1(SALU_CYCLE_1)
	s_and_b32 s3, exec_lo, s40
	s_or_b32 s38, s3, s38
	s_and_not1_b32 s3, s37, exec_lo
	s_and_b32 s37, s39, exec_lo
	s_delay_alu instid0(SALU_CYCLE_1)
	s_or_b32 s37, s3, s37
	s_and_not1_b32 exec_lo, exec_lo, s38
	s_cbranch_execz .LBB40_22
.LBB40_20:                              ;   Parent Loop BB40_5 Depth=1
                                        ;     Parent Loop BB40_9 Depth=2
                                        ; =>    This Inner Loop Header: Depth=3
	global_load_b32 v11, v[14:15], off
	v_dual_mov_b32 v17, v13 :: v_dual_mov_b32 v16, v12
	s_or_b32 s39, s39, exec_lo
	s_or_b32 s40, s40, exec_lo
	s_mov_b32 s41, exec_lo
                                        ; implicit-def: $vgpr12_vgpr13
	s_waitcnt vmcnt(0)
	v_subrev_nc_u32_e32 v11, s30, v11
	s_delay_alu instid0(VALU_DEP_1)
	v_cmpx_ne_u32_e64 v11, v1
	s_cbranch_execz .LBB40_19
; %bb.21:                               ;   in Loop: Header=BB40_20 Depth=3
	v_add_co_u32 v12, vcc_lo, v16, 1
	v_add_co_ci_u32_e32 v13, vcc_lo, 0, v17, vcc_lo
	v_add_co_u32 v14, s3, v14, 4
	s_delay_alu instid0(VALU_DEP_3) | instskip(SKIP_4) | instid1(SALU_CYCLE_1)
	v_cmp_ge_i32_e32 vcc_lo, v12, v29
	v_add_co_ci_u32_e64 v15, s3, 0, v15, s3
	s_and_not1_b32 s3, s40, exec_lo
	s_and_not1_b32 s39, s39, exec_lo
	s_and_b32 s40, vcc_lo, exec_lo
	s_or_b32 s40, s3, s40
	s_branch .LBB40_19
.LBB40_22:                              ;   in Loop: Header=BB40_9 Depth=2
	s_set_inst_prefetch_distance 0x2
	s_or_b32 exec_lo, exec_lo, s38
	s_and_saveexec_b32 s3, s37
	s_delay_alu instid0(SALU_CYCLE_1)
	s_xor_b32 s3, exec_lo, s3
	s_cbranch_execz .LBB40_24
; %bb.23:                               ;   in Loop: Header=BB40_9 Depth=2
	v_lshlrev_b64 v[11:12], 2, v[16:17]
	s_delay_alu instid0(VALU_DEP_1) | instskip(NEXT) | instid1(VALU_DEP_2)
	v_add_co_u32 v11, vcc_lo, s8, v11
	v_add_co_ci_u32_e32 v12, vcc_lo, s9, v12, vcc_lo
	global_load_b32 v11, v[11:12], off
	s_waitcnt vmcnt(0)
	v_ashrrev_i32_e32 v12, 31, v11
	s_delay_alu instid0(VALU_DEP_1) | instskip(NEXT) | instid1(VALU_DEP_1)
	v_lshlrev_b64 v[11:12], 3, v[11:12]
	v_add_co_u32 v11, vcc_lo, s10, v11
	s_delay_alu instid0(VALU_DEP_2)
	v_add_co_ci_u32_e32 v12, vcc_lo, s11, v12, vcc_lo
	global_load_b64 v[11:12], v[11:12], off
	s_waitcnt vmcnt(0)
	v_dual_add_f32 v27, v27, v11 :: v_dual_add_f32 v28, v28, v12
.LBB40_24:                              ;   in Loop: Header=BB40_9 Depth=2
	s_or_b32 exec_lo, exec_lo, s3
.LBB40_25:                              ;   in Loop: Header=BB40_9 Depth=2
	s_delay_alu instid0(SALU_CYCLE_1) | instskip(NEXT) | instid1(SALU_CYCLE_1)
	s_or_b32 exec_lo, exec_lo, s36
	s_mov_b32 s36, exec_lo
	v_cmpx_lt_i32_e64 v10, v24
	s_cbranch_execz .LBB40_33
; %bb.26:                               ;   in Loop: Header=BB40_9 Depth=2
	v_ashrrev_i32_e32 v11, 31, v10
	s_mov_b32 s38, 0
                                        ; implicit-def: $sgpr37
                                        ; implicit-def: $sgpr40
                                        ; implicit-def: $sgpr39
	s_delay_alu instid0(VALU_DEP_1) | instskip(NEXT) | instid1(VALU_DEP_1)
	v_lshlrev_b64 v[12:13], 2, v[10:11]
	v_add_co_u32 v12, vcc_lo, s16, v12
	s_delay_alu instid0(VALU_DEP_2)
	v_add_co_ci_u32_e32 v13, vcc_lo, s17, v13, vcc_lo
	s_set_inst_prefetch_distance 0x1
	s_branch .LBB40_28
	.p2align	6
.LBB40_27:                              ;   in Loop: Header=BB40_28 Depth=3
	s_or_b32 exec_lo, exec_lo, s41
	s_delay_alu instid0(SALU_CYCLE_1) | instskip(NEXT) | instid1(SALU_CYCLE_1)
	s_and_b32 s3, exec_lo, s40
	s_or_b32 s38, s3, s38
	s_and_not1_b32 s3, s37, exec_lo
	s_and_b32 s37, s39, exec_lo
	s_delay_alu instid0(SALU_CYCLE_1)
	s_or_b32 s37, s3, s37
	s_and_not1_b32 exec_lo, exec_lo, s38
	s_cbranch_execz .LBB40_30
.LBB40_28:                              ;   Parent Loop BB40_5 Depth=1
                                        ;     Parent Loop BB40_9 Depth=2
                                        ; =>    This Inner Loop Header: Depth=3
	global_load_b32 v16, v[12:13], off
	v_dual_mov_b32 v15, v11 :: v_dual_mov_b32 v14, v10
	s_or_b32 s39, s39, exec_lo
	s_or_b32 s40, s40, exec_lo
	s_mov_b32 s41, exec_lo
                                        ; implicit-def: $vgpr10_vgpr11
	s_waitcnt vmcnt(0)
	v_cmpx_ne_u32_e64 v16, v26
	s_cbranch_execz .LBB40_27
; %bb.29:                               ;   in Loop: Header=BB40_28 Depth=3
	v_add_co_u32 v10, vcc_lo, v14, 1
	v_add_co_ci_u32_e32 v11, vcc_lo, 0, v15, vcc_lo
	v_add_co_u32 v12, s3, v12, 4
	s_delay_alu instid0(VALU_DEP_3) | instskip(SKIP_4) | instid1(SALU_CYCLE_1)
	v_cmp_ge_i32_e32 vcc_lo, v10, v24
	v_add_co_ci_u32_e64 v13, s3, 0, v13, s3
	s_and_not1_b32 s3, s40, exec_lo
	s_and_not1_b32 s39, s39, exec_lo
	s_and_b32 s40, vcc_lo, exec_lo
	s_or_b32 s40, s3, s40
	s_branch .LBB40_27
.LBB40_30:                              ;   in Loop: Header=BB40_9 Depth=2
	s_set_inst_prefetch_distance 0x2
	s_or_b32 exec_lo, exec_lo, s38
	s_and_saveexec_b32 s3, s37
	s_delay_alu instid0(SALU_CYCLE_1)
	s_xor_b32 s3, exec_lo, s3
	s_cbranch_execz .LBB40_32
; %bb.31:                               ;   in Loop: Header=BB40_9 Depth=2
	v_lshlrev_b64 v[10:11], 3, v[14:15]
	s_delay_alu instid0(VALU_DEP_1) | instskip(NEXT) | instid1(VALU_DEP_2)
	v_add_co_u32 v10, vcc_lo, s10, v10
	v_add_co_ci_u32_e32 v11, vcc_lo, s11, v11, vcc_lo
	global_load_b64 v[10:11], v[10:11], off
	s_waitcnt vmcnt(0)
	v_fmac_f32_e32 v27, v10, v8
	v_fmac_f32_e32 v28, v11, v8
	s_delay_alu instid0(VALU_DEP_2) | instskip(NEXT) | instid1(VALU_DEP_2)
	v_fma_f32 v27, -v11, v9, v27
	v_fmac_f32_e32 v28, v10, v9
.LBB40_32:                              ;   in Loop: Header=BB40_9 Depth=2
	s_or_b32 exec_lo, exec_lo, s3
.LBB40_33:                              ;   in Loop: Header=BB40_9 Depth=2
	s_delay_alu instid0(SALU_CYCLE_1) | instskip(SKIP_1) | instid1(VALU_DEP_1)
	s_or_b32 exec_lo, exec_lo, s36
	s_waitcnt vmcnt(0)
	v_dual_add_f32 v8, v8, v27 :: v_dual_add_f32 v9, v9, v28
	v_cmp_eq_u32_e32 vcc_lo, v1, v7
	s_mov_b32 s3, exec_lo
	s_delay_alu instid0(VALU_DEP_2) | instskip(NEXT) | instid1(VALU_DEP_1)
	v_dual_cndmask_b32 v10, v28, v9 :: v_dual_cndmask_b32 v7, v27, v8
	v_cmp_gt_f32_e32 vcc_lo, 0, v7
	v_cndmask_b32_e64 v8, v7, -v7, vcc_lo
	s_delay_alu instid0(VALU_DEP_3) | instskip(SKIP_1) | instid1(VALU_DEP_1)
	v_cmp_gt_f32_e32 vcc_lo, 0, v10
                                        ; implicit-def: $vgpr7
	v_cndmask_b32_e64 v9, v10, -v10, vcc_lo
	v_cmpx_ngt_f32_e32 v8, v9
	s_xor_b32 s36, exec_lo, s3
	s_cbranch_execz .LBB40_37
; %bb.34:                               ;   in Loop: Header=BB40_9 Depth=2
	v_mov_b32_e32 v7, 0
	s_mov_b32 s37, exec_lo
	v_cmpx_neq_f32_e32 0, v10
	s_cbranch_execz .LBB40_36
; %bb.35:                               ;   in Loop: Header=BB40_9 Depth=2
	v_div_scale_f32 v7, null, v9, v9, v8
	v_div_scale_f32 v12, vcc_lo, v8, v9, v8
	s_delay_alu instid0(VALU_DEP_2) | instskip(SKIP_2) | instid1(VALU_DEP_1)
	v_rcp_f32_e32 v10, v7
	s_waitcnt_depctr 0xfff
	v_fma_f32 v11, -v7, v10, 1.0
	v_fmac_f32_e32 v10, v11, v10
	s_delay_alu instid0(VALU_DEP_1) | instskip(NEXT) | instid1(VALU_DEP_1)
	v_mul_f32_e32 v11, v12, v10
	v_fma_f32 v13, -v7, v11, v12
	s_delay_alu instid0(VALU_DEP_1) | instskip(NEXT) | instid1(VALU_DEP_1)
	v_fmac_f32_e32 v11, v13, v10
	v_fma_f32 v7, -v7, v11, v12
	s_delay_alu instid0(VALU_DEP_1) | instskip(NEXT) | instid1(VALU_DEP_1)
	v_div_fmas_f32 v7, v7, v10, v11
	v_div_fixup_f32 v7, v7, v9, v8
	s_delay_alu instid0(VALU_DEP_1) | instskip(NEXT) | instid1(VALU_DEP_1)
	v_fma_f32 v7, v7, v7, 1.0
	v_mul_f32_e32 v8, 0x4f800000, v7
	v_cmp_gt_f32_e32 vcc_lo, 0xf800000, v7
	s_delay_alu instid0(VALU_DEP_2) | instskip(NEXT) | instid1(VALU_DEP_1)
	v_cndmask_b32_e32 v7, v7, v8, vcc_lo
	v_sqrt_f32_e32 v8, v7
	s_waitcnt_depctr 0xfff
	v_add_nc_u32_e32 v10, -1, v8
	v_add_nc_u32_e32 v11, 1, v8
	s_delay_alu instid0(VALU_DEP_2) | instskip(NEXT) | instid1(VALU_DEP_2)
	v_fma_f32 v12, -v10, v8, v7
	v_fma_f32 v13, -v11, v8, v7
	s_delay_alu instid0(VALU_DEP_2) | instskip(NEXT) | instid1(VALU_DEP_1)
	v_cmp_ge_f32_e64 s3, 0, v12
	v_cndmask_b32_e64 v8, v8, v10, s3
	s_delay_alu instid0(VALU_DEP_3) | instskip(NEXT) | instid1(VALU_DEP_1)
	v_cmp_lt_f32_e64 s3, 0, v13
	v_cndmask_b32_e64 v8, v8, v11, s3
	s_delay_alu instid0(VALU_DEP_1) | instskip(NEXT) | instid1(VALU_DEP_1)
	v_mul_f32_e32 v10, 0x37800000, v8
	v_cndmask_b32_e32 v8, v8, v10, vcc_lo
	v_cmp_class_f32_e64 vcc_lo, v7, 0x260
	s_delay_alu instid0(VALU_DEP_2) | instskip(NEXT) | instid1(VALU_DEP_1)
	v_cndmask_b32_e32 v7, v8, v7, vcc_lo
	v_mul_f32_e32 v7, v9, v7
.LBB40_36:                              ;   in Loop: Header=BB40_9 Depth=2
	s_or_b32 exec_lo, exec_lo, s37
                                        ; implicit-def: $vgpr8
                                        ; implicit-def: $vgpr9
.LBB40_37:                              ;   in Loop: Header=BB40_9 Depth=2
	s_and_not1_saveexec_b32 s36, s36
	s_cbranch_execz .LBB40_39
; %bb.38:                               ;   in Loop: Header=BB40_9 Depth=2
	v_div_scale_f32 v7, null, v8, v8, v9
	v_div_scale_f32 v12, vcc_lo, v9, v8, v9
	s_delay_alu instid0(VALU_DEP_2) | instskip(SKIP_2) | instid1(VALU_DEP_1)
	v_rcp_f32_e32 v10, v7
	s_waitcnt_depctr 0xfff
	v_fma_f32 v11, -v7, v10, 1.0
	v_fmac_f32_e32 v10, v11, v10
	s_delay_alu instid0(VALU_DEP_1) | instskip(NEXT) | instid1(VALU_DEP_1)
	v_mul_f32_e32 v11, v12, v10
	v_fma_f32 v13, -v7, v11, v12
	s_delay_alu instid0(VALU_DEP_1) | instskip(NEXT) | instid1(VALU_DEP_1)
	v_fmac_f32_e32 v11, v13, v10
	v_fma_f32 v7, -v7, v11, v12
	s_delay_alu instid0(VALU_DEP_1) | instskip(NEXT) | instid1(VALU_DEP_1)
	v_div_fmas_f32 v7, v7, v10, v11
	v_div_fixup_f32 v7, v7, v8, v9
	s_delay_alu instid0(VALU_DEP_1) | instskip(NEXT) | instid1(VALU_DEP_1)
	v_fma_f32 v7, v7, v7, 1.0
	v_mul_f32_e32 v9, 0x4f800000, v7
	v_cmp_gt_f32_e32 vcc_lo, 0xf800000, v7
	s_delay_alu instid0(VALU_DEP_2) | instskip(NEXT) | instid1(VALU_DEP_1)
	v_cndmask_b32_e32 v7, v7, v9, vcc_lo
	v_sqrt_f32_e32 v9, v7
	s_waitcnt_depctr 0xfff
	v_add_nc_u32_e32 v10, -1, v9
	v_add_nc_u32_e32 v11, 1, v9
	s_delay_alu instid0(VALU_DEP_2) | instskip(NEXT) | instid1(VALU_DEP_2)
	v_fma_f32 v12, -v10, v9, v7
	v_fma_f32 v13, -v11, v9, v7
	s_delay_alu instid0(VALU_DEP_2) | instskip(NEXT) | instid1(VALU_DEP_1)
	v_cmp_ge_f32_e64 s3, 0, v12
	v_cndmask_b32_e64 v9, v9, v10, s3
	s_delay_alu instid0(VALU_DEP_3) | instskip(NEXT) | instid1(VALU_DEP_1)
	v_cmp_lt_f32_e64 s3, 0, v13
	v_cndmask_b32_e64 v9, v9, v11, s3
	s_delay_alu instid0(VALU_DEP_1) | instskip(NEXT) | instid1(VALU_DEP_1)
	v_mul_f32_e32 v10, 0x37800000, v9
	v_cndmask_b32_e32 v9, v9, v10, vcc_lo
	v_cmp_class_f32_e64 vcc_lo, v7, 0x260
	s_delay_alu instid0(VALU_DEP_2) | instskip(NEXT) | instid1(VALU_DEP_1)
	v_cndmask_b32_e32 v7, v9, v7, vcc_lo
	v_mul_f32_e32 v7, v8, v7
.LBB40_39:                              ;   in Loop: Header=BB40_9 Depth=2
	s_or_b32 exec_lo, exec_lo, s36
	v_cmp_gt_f32_e32 vcc_lo, 0, v5
                                        ; implicit-def: $vgpr10
	s_mov_b32 s3, exec_lo
	v_cndmask_b32_e64 v8, v5, -v5, vcc_lo
	v_cmp_gt_f32_e32 vcc_lo, 0, v6
	v_cndmask_b32_e64 v9, v6, -v6, vcc_lo
	s_delay_alu instid0(VALU_DEP_1)
	v_cmpx_ngt_f32_e32 v8, v9
	s_xor_b32 s36, exec_lo, s3
	s_cbranch_execnz .LBB40_42
; %bb.40:                               ;   in Loop: Header=BB40_9 Depth=2
	s_and_not1_saveexec_b32 s36, s36
	s_cbranch_execnz .LBB40_45
.LBB40_41:                              ;   in Loop: Header=BB40_9 Depth=2
	s_or_b32 exec_lo, exec_lo, s36
	v_cmp_class_f32_e64 s36, v10, 0x1f8
	s_delay_alu instid0(VALU_DEP_1)
	s_and_saveexec_b32 s3, s36
	s_cbranch_execz .LBB40_8
	s_branch .LBB40_46
.LBB40_42:                              ;   in Loop: Header=BB40_9 Depth=2
	v_mov_b32_e32 v10, 0
	s_mov_b32 s37, exec_lo
	v_cmpx_neq_f32_e32 0, v6
	s_cbranch_execz .LBB40_44
; %bb.43:                               ;   in Loop: Header=BB40_9 Depth=2
	v_div_scale_f32 v10, null, v9, v9, v8
	v_div_scale_f32 v13, vcc_lo, v8, v9, v8
	s_delay_alu instid0(VALU_DEP_2) | instskip(SKIP_2) | instid1(VALU_DEP_1)
	v_rcp_f32_e32 v11, v10
	s_waitcnt_depctr 0xfff
	v_fma_f32 v12, -v10, v11, 1.0
	v_fmac_f32_e32 v11, v12, v11
	s_delay_alu instid0(VALU_DEP_1) | instskip(NEXT) | instid1(VALU_DEP_1)
	v_mul_f32_e32 v12, v13, v11
	v_fma_f32 v14, -v10, v12, v13
	s_delay_alu instid0(VALU_DEP_1) | instskip(NEXT) | instid1(VALU_DEP_1)
	v_fmac_f32_e32 v12, v14, v11
	v_fma_f32 v10, -v10, v12, v13
	s_delay_alu instid0(VALU_DEP_1) | instskip(NEXT) | instid1(VALU_DEP_1)
	v_div_fmas_f32 v10, v10, v11, v12
	v_div_fixup_f32 v8, v10, v9, v8
	s_delay_alu instid0(VALU_DEP_1) | instskip(NEXT) | instid1(VALU_DEP_1)
	v_fma_f32 v8, v8, v8, 1.0
	v_mul_f32_e32 v10, 0x4f800000, v8
	v_cmp_gt_f32_e32 vcc_lo, 0xf800000, v8
	s_delay_alu instid0(VALU_DEP_2) | instskip(NEXT) | instid1(VALU_DEP_1)
	v_cndmask_b32_e32 v8, v8, v10, vcc_lo
	v_sqrt_f32_e32 v10, v8
	s_waitcnt_depctr 0xfff
	v_add_nc_u32_e32 v11, -1, v10
	v_add_nc_u32_e32 v12, 1, v10
	s_delay_alu instid0(VALU_DEP_2) | instskip(NEXT) | instid1(VALU_DEP_2)
	v_fma_f32 v13, -v11, v10, v8
	v_fma_f32 v14, -v12, v10, v8
	s_delay_alu instid0(VALU_DEP_2) | instskip(NEXT) | instid1(VALU_DEP_1)
	v_cmp_ge_f32_e64 s3, 0, v13
	v_cndmask_b32_e64 v10, v10, v11, s3
	s_delay_alu instid0(VALU_DEP_3) | instskip(NEXT) | instid1(VALU_DEP_1)
	v_cmp_lt_f32_e64 s3, 0, v14
	v_cndmask_b32_e64 v10, v10, v12, s3
	s_delay_alu instid0(VALU_DEP_1) | instskip(NEXT) | instid1(VALU_DEP_1)
	v_mul_f32_e32 v11, 0x37800000, v10
	v_cndmask_b32_e32 v10, v10, v11, vcc_lo
	v_cmp_class_f32_e64 vcc_lo, v8, 0x260
	s_delay_alu instid0(VALU_DEP_2) | instskip(NEXT) | instid1(VALU_DEP_1)
	v_cndmask_b32_e32 v8, v10, v8, vcc_lo
	v_mul_f32_e32 v10, v9, v8
.LBB40_44:                              ;   in Loop: Header=BB40_9 Depth=2
	s_or_b32 exec_lo, exec_lo, s37
                                        ; implicit-def: $vgpr8
                                        ; implicit-def: $vgpr9
	s_and_not1_saveexec_b32 s36, s36
	s_cbranch_execz .LBB40_41
.LBB40_45:                              ;   in Loop: Header=BB40_9 Depth=2
	v_div_scale_f32 v10, null, v8, v8, v9
	v_div_scale_f32 v13, vcc_lo, v9, v8, v9
	s_delay_alu instid0(VALU_DEP_2) | instskip(SKIP_2) | instid1(VALU_DEP_1)
	v_rcp_f32_e32 v11, v10
	s_waitcnt_depctr 0xfff
	v_fma_f32 v12, -v10, v11, 1.0
	v_fmac_f32_e32 v11, v12, v11
	s_delay_alu instid0(VALU_DEP_1) | instskip(NEXT) | instid1(VALU_DEP_1)
	v_mul_f32_e32 v12, v13, v11
	v_fma_f32 v14, -v10, v12, v13
	s_delay_alu instid0(VALU_DEP_1) | instskip(NEXT) | instid1(VALU_DEP_1)
	v_fmac_f32_e32 v12, v14, v11
	v_fma_f32 v10, -v10, v12, v13
	s_delay_alu instid0(VALU_DEP_1) | instskip(NEXT) | instid1(VALU_DEP_1)
	v_div_fmas_f32 v10, v10, v11, v12
	v_div_fixup_f32 v9, v10, v8, v9
	s_delay_alu instid0(VALU_DEP_1) | instskip(NEXT) | instid1(VALU_DEP_1)
	v_fma_f32 v9, v9, v9, 1.0
	v_mul_f32_e32 v10, 0x4f800000, v9
	v_cmp_gt_f32_e32 vcc_lo, 0xf800000, v9
	s_delay_alu instid0(VALU_DEP_2) | instskip(NEXT) | instid1(VALU_DEP_1)
	v_cndmask_b32_e32 v9, v9, v10, vcc_lo
	v_sqrt_f32_e32 v10, v9
	s_waitcnt_depctr 0xfff
	v_add_nc_u32_e32 v11, -1, v10
	v_add_nc_u32_e32 v12, 1, v10
	s_delay_alu instid0(VALU_DEP_2) | instskip(NEXT) | instid1(VALU_DEP_2)
	v_fma_f32 v13, -v11, v10, v9
	v_fma_f32 v14, -v12, v10, v9
	s_delay_alu instid0(VALU_DEP_2) | instskip(NEXT) | instid1(VALU_DEP_1)
	v_cmp_ge_f32_e64 s3, 0, v13
	v_cndmask_b32_e64 v10, v10, v11, s3
	s_delay_alu instid0(VALU_DEP_3) | instskip(NEXT) | instid1(VALU_DEP_1)
	v_cmp_lt_f32_e64 s3, 0, v14
	v_cndmask_b32_e64 v10, v10, v12, s3
	s_delay_alu instid0(VALU_DEP_1) | instskip(NEXT) | instid1(VALU_DEP_1)
	v_mul_f32_e32 v11, 0x37800000, v10
	v_cndmask_b32_e32 v10, v10, v11, vcc_lo
	v_cmp_class_f32_e64 vcc_lo, v9, 0x260
	s_delay_alu instid0(VALU_DEP_2) | instskip(NEXT) | instid1(VALU_DEP_1)
	v_cndmask_b32_e32 v9, v10, v9, vcc_lo
	v_mul_f32_e32 v10, v8, v9
	s_or_b32 exec_lo, exec_lo, s36
	s_delay_alu instid0(VALU_DEP_1) | instskip(NEXT) | instid1(VALU_DEP_1)
	v_cmp_class_f32_e64 s36, v10, 0x1f8
	s_and_saveexec_b32 s3, s36
	s_cbranch_execz .LBB40_8
.LBB40_46:                              ;   in Loop: Header=BB40_9 Depth=2
	v_add_co_u32 v3, vcc_lo, s10, v3
	v_add_co_ci_u32_e32 v4, vcc_lo, s11, v4, vcc_lo
	global_store_b64 v[3:4], v[5:6], off
	s_branch .LBB40_8
.LBB40_47:
	s_or_b32 exec_lo, exec_lo, s29
	v_mbcnt_lo_u32_b32 v1, -1, 0
	s_mov_b32 s2, exec_lo
	s_delay_alu instid0(VALU_DEP_1) | instskip(SKIP_1) | instid1(VALU_DEP_2)
	v_xor_b32_e32 v2, 2, v1
	v_xor_b32_e32 v3, 1, v1
	v_cmp_gt_i32_e32 vcc_lo, 32, v2
	v_cndmask_b32_e32 v2, v1, v2, vcc_lo
	s_delay_alu instid0(VALU_DEP_3) | instskip(NEXT) | instid1(VALU_DEP_2)
	v_cmp_gt_i32_e32 vcc_lo, 32, v3
	v_dual_cndmask_b32 v3, v1, v3 :: v_dual_lshlrev_b32 v2, 2, v2
	ds_bpermute_b32 v2, v2, v21
	s_waitcnt lgkmcnt(0)
	v_cmp_lt_f32_e32 vcc_lo, v21, v2
	v_dual_cndmask_b32 v1, v21, v2 :: v_dual_lshlrev_b32 v2, 2, v3
	ds_bpermute_b32 v2, v2, v1
	v_cmpx_eq_u32_e32 3, v19
	s_cbranch_execz .LBB40_49
; %bb.48:
	s_waitcnt lgkmcnt(0)
	v_cmp_lt_f32_e32 vcc_lo, v1, v2
	v_lshlrev_b32_e32 v3, 2, v18
	v_cndmask_b32_e32 v1, v1, v2, vcc_lo
	ds_store_b32 v3, v1
.LBB40_49:
	s_or_b32 exec_lo, exec_lo, s2
	v_lshlrev_b32_e32 v1, 2, v0
	s_mov_b32 s2, exec_lo
	s_waitcnt lgkmcnt(0)
	s_waitcnt_vscnt null, 0x0
	s_barrier
	buffer_gl0_inv
	v_cmpx_gt_u32_e32 0x80, v0
	s_cbranch_execz .LBB40_51
; %bb.50:
	ds_load_2addr_stride64_b32 v[2:3], v1 offset1:2
	s_waitcnt lgkmcnt(0)
	v_cmp_lt_f32_e32 vcc_lo, v2, v3
	v_cndmask_b32_e32 v2, v2, v3, vcc_lo
	ds_store_b32 v1, v2
.LBB40_51:
	s_or_b32 exec_lo, exec_lo, s2
	s_delay_alu instid0(SALU_CYCLE_1)
	s_mov_b32 s2, exec_lo
	s_waitcnt lgkmcnt(0)
	s_barrier
	buffer_gl0_inv
	v_cmpx_gt_u32_e32 64, v0
	s_cbranch_execz .LBB40_53
; %bb.52:
	ds_load_2addr_stride64_b32 v[2:3], v1 offset1:1
	s_waitcnt lgkmcnt(0)
	v_cmp_lt_f32_e32 vcc_lo, v2, v3
	v_cndmask_b32_e32 v2, v2, v3, vcc_lo
	ds_store_b32 v1, v2
.LBB40_53:
	s_or_b32 exec_lo, exec_lo, s2
	s_delay_alu instid0(SALU_CYCLE_1)
	s_mov_b32 s2, exec_lo
	s_waitcnt lgkmcnt(0)
	s_barrier
	buffer_gl0_inv
	v_cmpx_gt_u32_e32 32, v0
	s_cbranch_execz .LBB40_55
; %bb.54:
	ds_load_2addr_b32 v[2:3], v1 offset1:32
	s_waitcnt lgkmcnt(0)
	v_cmp_lt_f32_e32 vcc_lo, v2, v3
	v_cndmask_b32_e32 v2, v2, v3, vcc_lo
	ds_store_b32 v1, v2
.LBB40_55:
	s_or_b32 exec_lo, exec_lo, s2
	s_delay_alu instid0(SALU_CYCLE_1)
	s_mov_b32 s2, exec_lo
	s_waitcnt lgkmcnt(0)
	s_barrier
	buffer_gl0_inv
	v_cmpx_gt_u32_e32 16, v0
	s_cbranch_execz .LBB40_57
; %bb.56:
	ds_load_2addr_b32 v[2:3], v1 offset1:16
	s_waitcnt lgkmcnt(0)
	v_cmp_lt_f32_e32 vcc_lo, v2, v3
	v_cndmask_b32_e32 v2, v2, v3, vcc_lo
	ds_store_b32 v1, v2
.LBB40_57:
	;; [unrolled: 15-line block ×5, first 2 shown]
	s_or_b32 exec_lo, exec_lo, s2
	v_cmp_eq_u32_e32 vcc_lo, 0, v0
	s_waitcnt lgkmcnt(0)
	s_barrier
	buffer_gl0_inv
	s_and_saveexec_b32 s3, vcc_lo
	s_cbranch_execz .LBB40_65
; %bb.64:
	v_mov_b32_e32 v2, 0
	ds_load_b64 v[0:1], v2
	s_waitcnt lgkmcnt(0)
	v_cmp_lt_f32_e64 s2, v0, v1
	s_delay_alu instid0(VALU_DEP_1)
	v_cndmask_b32_e64 v0, v0, v1, s2
	ds_store_b32 v2, v0
.LBB40_65:
	s_or_b32 exec_lo, exec_lo, s3
	s_waitcnt lgkmcnt(0)
	s_barrier
	buffer_gl0_inv
	s_and_saveexec_b32 s2, vcc_lo
	s_cbranch_execz .LBB40_70
; %bb.66:
	s_load_b128 s[4:7], s[0:1], 0x70
	v_mov_b32_e32 v2, 0
	s_mov_b32 s1, 0
                                        ; implicit-def: $sgpr2
                                        ; implicit-def: $sgpr3
	ds_load_b32 v0, v2
	s_waitcnt lgkmcnt(0)
	s_load_b32 s0, s[6:7], 0x0
	s_waitcnt lgkmcnt(0)
	v_div_scale_f32 v3, null, s0, s0, v0
	v_div_scale_f32 v6, vcc_lo, v0, s0, v0
	s_delay_alu instid0(VALU_DEP_2) | instskip(SKIP_2) | instid1(VALU_DEP_1)
	v_rcp_f32_e32 v4, v3
	s_waitcnt_depctr 0xfff
	v_fma_f32 v5, -v3, v4, 1.0
	v_fmac_f32_e32 v4, v5, v4
	s_delay_alu instid0(VALU_DEP_1) | instskip(SKIP_2) | instid1(VALU_DEP_1)
	v_mul_f32_e32 v5, v6, v4
	global_load_b32 v1, v2, s[4:5] glc
	v_fma_f32 v7, -v3, v5, v6
	v_fmac_f32_e32 v5, v7, v4
	s_delay_alu instid0(VALU_DEP_1) | instskip(NEXT) | instid1(VALU_DEP_1)
	v_fma_f32 v3, -v3, v5, v6
	v_div_fmas_f32 v3, v3, v4, v5
	s_delay_alu instid0(VALU_DEP_1) | instskip(NEXT) | instid1(VALU_DEP_1)
	v_div_fixup_f32 v0, v3, s0, v0
	v_cmp_eq_f32_e32 vcc_lo, 0, v0
	s_waitcnt vmcnt(0)
	v_cmp_eq_u32_e64 s6, 0x80000000, v1
	s_set_inst_prefetch_distance 0x1
	s_branch .LBB40_68
	.p2align	6
.LBB40_67:                              ;   in Loop: Header=BB40_68 Depth=1
	s_or_b32 exec_lo, exec_lo, s7
	s_delay_alu instid0(SALU_CYCLE_1) | instskip(NEXT) | instid1(SALU_CYCLE_1)
	s_and_b32 s0, exec_lo, s2
	s_or_b32 s1, s0, s1
	s_and_not1_b32 s0, s6, exec_lo
	s_and_b32 s6, s3, exec_lo
	s_delay_alu instid0(SALU_CYCLE_1)
	s_or_b32 s6, s0, s6
	s_and_not1_b32 exec_lo, exec_lo, s1
	s_cbranch_execz .LBB40_70
.LBB40_68:                              ; =>This Inner Loop Header: Depth=1
	v_cmp_lt_f32_e64 s0, v1, v0
	s_delay_alu instid0(VALU_DEP_2) | instskip(SKIP_2) | instid1(VALU_DEP_1)
	s_and_b32 s7, vcc_lo, s6
	s_and_not1_b32 s3, s3, exec_lo
	s_or_b32 s2, s2, exec_lo
	s_or_b32 s0, s0, s7
	s_delay_alu instid0(SALU_CYCLE_1)
	s_and_saveexec_b32 s7, s0
	s_cbranch_execz .LBB40_67
; %bb.69:                               ;   in Loop: Header=BB40_68 Depth=1
	global_atomic_cmpswap_b32 v3, v2, v[0:1], s[4:5] glc
	s_and_not1_b32 s3, s3, exec_lo
	s_and_not1_b32 s2, s2, exec_lo
	s_waitcnt vmcnt(0)
	v_cmp_eq_u32_e64 s0, v3, v1
	s_delay_alu instid0(VALU_DEP_1) | instskip(SKIP_1) | instid1(SALU_CYCLE_1)
	v_cndmask_b32_e64 v1, v3, v1, s0
	s_and_b32 s0, s0, exec_lo
	s_or_b32 s2, s2, s0
	s_delay_alu instid0(VALU_DEP_1) | instskip(SKIP_1) | instid1(VALU_DEP_2)
	v_cmp_class_f32_e64 s6, v1, 32
	v_mov_b32_e32 v1, v3
	s_and_b32 s6, s6, exec_lo
	s_delay_alu instid0(SALU_CYCLE_1)
	s_or_b32 s3, s3, s6
                                        ; implicit-def: $sgpr6
	s_branch .LBB40_67
.LBB40_70:
	s_set_inst_prefetch_distance 0x2
	s_endpgm
	.section	.rodata,"a",@progbits
	.p2align	6, 0x0
	.amdhsa_kernel _ZN9rocsparseL16kernel_calculateILi1024ELi4ELb1E21rocsparse_complex_numIfEiiEEvT4_T3_PKS4_S6_PKS3_PKT2_21rocsparse_index_base_S6_S6_S8_S6_S6_S8_S6_PS9_PNS_15floating_traitsIS9_E6data_tEPKSG_
		.amdhsa_group_segment_fixed_size 1024
		.amdhsa_private_segment_fixed_size 0
		.amdhsa_kernarg_size 128
		.amdhsa_user_sgpr_count 15
		.amdhsa_user_sgpr_dispatch_ptr 0
		.amdhsa_user_sgpr_queue_ptr 0
		.amdhsa_user_sgpr_kernarg_segment_ptr 1
		.amdhsa_user_sgpr_dispatch_id 0
		.amdhsa_user_sgpr_private_segment_size 0
		.amdhsa_wavefront_size32 1
		.amdhsa_uses_dynamic_stack 0
		.amdhsa_enable_private_segment 0
		.amdhsa_system_sgpr_workgroup_id_x 1
		.amdhsa_system_sgpr_workgroup_id_y 0
		.amdhsa_system_sgpr_workgroup_id_z 0
		.amdhsa_system_sgpr_workgroup_info 0
		.amdhsa_system_vgpr_workitem_id 0
		.amdhsa_next_free_vgpr 32
		.amdhsa_next_free_sgpr 42
		.amdhsa_reserve_vcc 1
		.amdhsa_float_round_mode_32 0
		.amdhsa_float_round_mode_16_64 0
		.amdhsa_float_denorm_mode_32 3
		.amdhsa_float_denorm_mode_16_64 3
		.amdhsa_dx10_clamp 1
		.amdhsa_ieee_mode 1
		.amdhsa_fp16_overflow 0
		.amdhsa_workgroup_processor_mode 1
		.amdhsa_memory_ordered 1
		.amdhsa_forward_progress 0
		.amdhsa_shared_vgpr_count 0
		.amdhsa_exception_fp_ieee_invalid_op 0
		.amdhsa_exception_fp_denorm_src 0
		.amdhsa_exception_fp_ieee_div_zero 0
		.amdhsa_exception_fp_ieee_overflow 0
		.amdhsa_exception_fp_ieee_underflow 0
		.amdhsa_exception_fp_ieee_inexact 0
		.amdhsa_exception_int_div_zero 0
	.end_amdhsa_kernel
	.section	.text._ZN9rocsparseL16kernel_calculateILi1024ELi4ELb1E21rocsparse_complex_numIfEiiEEvT4_T3_PKS4_S6_PKS3_PKT2_21rocsparse_index_base_S6_S6_S8_S6_S6_S8_S6_PS9_PNS_15floating_traitsIS9_E6data_tEPKSG_,"axG",@progbits,_ZN9rocsparseL16kernel_calculateILi1024ELi4ELb1E21rocsparse_complex_numIfEiiEEvT4_T3_PKS4_S6_PKS3_PKT2_21rocsparse_index_base_S6_S6_S8_S6_S6_S8_S6_PS9_PNS_15floating_traitsIS9_E6data_tEPKSG_,comdat
.Lfunc_end40:
	.size	_ZN9rocsparseL16kernel_calculateILi1024ELi4ELb1E21rocsparse_complex_numIfEiiEEvT4_T3_PKS4_S6_PKS3_PKT2_21rocsparse_index_base_S6_S6_S8_S6_S6_S8_S6_PS9_PNS_15floating_traitsIS9_E6data_tEPKSG_, .Lfunc_end40-_ZN9rocsparseL16kernel_calculateILi1024ELi4ELb1E21rocsparse_complex_numIfEiiEEvT4_T3_PKS4_S6_PKS3_PKT2_21rocsparse_index_base_S6_S6_S8_S6_S6_S8_S6_PS9_PNS_15floating_traitsIS9_E6data_tEPKSG_
                                        ; -- End function
	.section	.AMDGPU.csdata,"",@progbits
; Kernel info:
; codeLenInByte = 4040
; NumSgprs: 44
; NumVgprs: 32
; ScratchSize: 0
; MemoryBound: 0
; FloatMode: 240
; IeeeMode: 1
; LDSByteSize: 1024 bytes/workgroup (compile time only)
; SGPRBlocks: 5
; VGPRBlocks: 3
; NumSGPRsForWavesPerEU: 44
; NumVGPRsForWavesPerEU: 32
; Occupancy: 16
; WaveLimiterHint : 1
; COMPUTE_PGM_RSRC2:SCRATCH_EN: 0
; COMPUTE_PGM_RSRC2:USER_SGPR: 15
; COMPUTE_PGM_RSRC2:TRAP_HANDLER: 0
; COMPUTE_PGM_RSRC2:TGID_X_EN: 1
; COMPUTE_PGM_RSRC2:TGID_Y_EN: 0
; COMPUTE_PGM_RSRC2:TGID_Z_EN: 0
; COMPUTE_PGM_RSRC2:TIDIG_COMP_CNT: 0
	.section	.text._ZN9rocsparseL16kernel_calculateILi1024ELi8ELb1E21rocsparse_complex_numIfEiiEEvT4_T3_PKS4_S6_PKS3_PKT2_21rocsparse_index_base_S6_S6_S8_S6_S6_S8_S6_PS9_PNS_15floating_traitsIS9_E6data_tEPKSG_,"axG",@progbits,_ZN9rocsparseL16kernel_calculateILi1024ELi8ELb1E21rocsparse_complex_numIfEiiEEvT4_T3_PKS4_S6_PKS3_PKT2_21rocsparse_index_base_S6_S6_S8_S6_S6_S8_S6_PS9_PNS_15floating_traitsIS9_E6data_tEPKSG_,comdat
	.globl	_ZN9rocsparseL16kernel_calculateILi1024ELi8ELb1E21rocsparse_complex_numIfEiiEEvT4_T3_PKS4_S6_PKS3_PKT2_21rocsparse_index_base_S6_S6_S8_S6_S6_S8_S6_PS9_PNS_15floating_traitsIS9_E6data_tEPKSG_ ; -- Begin function _ZN9rocsparseL16kernel_calculateILi1024ELi8ELb1E21rocsparse_complex_numIfEiiEEvT4_T3_PKS4_S6_PKS3_PKT2_21rocsparse_index_base_S6_S6_S8_S6_S6_S8_S6_PS9_PNS_15floating_traitsIS9_E6data_tEPKSG_
	.p2align	8
	.type	_ZN9rocsparseL16kernel_calculateILi1024ELi8ELb1E21rocsparse_complex_numIfEiiEEvT4_T3_PKS4_S6_PKS3_PKT2_21rocsparse_index_base_S6_S6_S8_S6_S6_S8_S6_PS9_PNS_15floating_traitsIS9_E6data_tEPKSG_,@function
_ZN9rocsparseL16kernel_calculateILi1024ELi8ELb1E21rocsparse_complex_numIfEiiEEvT4_T3_PKS4_S6_PKS3_PKT2_21rocsparse_index_base_S6_S6_S8_S6_S6_S8_S6_PS9_PNS_15floating_traitsIS9_E6data_tEPKSG_: ; @_ZN9rocsparseL16kernel_calculateILi1024ELi8ELb1E21rocsparse_complex_numIfEiiEEvT4_T3_PKS4_S6_PKS3_PKT2_21rocsparse_index_base_S6_S6_S8_S6_S6_S8_S6_PS9_PNS_15floating_traitsIS9_E6data_tEPKSG_
; %bb.0:
	s_load_b32 s28, s[0:1], 0x0
	v_lshrrev_b32_e32 v18, 3, v0
	v_and_b32_e32 v19, 7, v0
	v_mov_b32_e32 v21, 0
	s_mov_b32 s29, exec_lo
	s_delay_alu instid0(VALU_DEP_3) | instskip(SKIP_1) | instid1(VALU_DEP_1)
	v_lshl_or_b32 v20, s15, 10, v18
	s_waitcnt lgkmcnt(0)
	v_cmpx_gt_i32_e64 s28, v20
	s_cbranch_execz .LBB41_47
; %bb.1:
	s_clause 0x3
	s_load_b32 s30, s[0:1], 0x28
	s_load_b256 s[4:11], s[0:1], 0x50
	s_load_b256 s[12:19], s[0:1], 0x30
	;; [unrolled: 1-line block ×3, first 2 shown]
	v_mov_b32_e32 v21, 0
	s_mov_b32 s31, 0
	s_waitcnt lgkmcnt(0)
	v_subrev_nc_u32_e32 v22, s30, v19
	s_branch .LBB41_5
.LBB41_2:                               ;   in Loop: Header=BB41_5 Depth=1
	s_or_b32 exec_lo, exec_lo, s35
.LBB41_3:                               ;   in Loop: Header=BB41_5 Depth=1
	s_delay_alu instid0(SALU_CYCLE_1)
	s_or_b32 exec_lo, exec_lo, s34
.LBB41_4:                               ;   in Loop: Header=BB41_5 Depth=1
	s_delay_alu instid0(SALU_CYCLE_1) | instskip(SKIP_1) | instid1(SALU_CYCLE_1)
	s_or_b32 exec_lo, exec_lo, s33
	s_add_i32 s31, s31, 1
	s_cmp_lg_u32 s31, 8
	s_cbranch_scc0 .LBB41_47
.LBB41_5:                               ; =>This Loop Header: Depth=1
                                        ;     Child Loop BB41_9 Depth 2
                                        ;       Child Loop BB41_12 Depth 3
                                        ;       Child Loop BB41_20 Depth 3
	;; [unrolled: 1-line block ×3, first 2 shown]
	v_lshl_add_u32 v1, s31, 7, v20
	s_mov_b32 s33, exec_lo
	s_delay_alu instid0(VALU_DEP_1)
	v_cmpx_gt_i32_e64 s28, v1
	s_cbranch_execz .LBB41_4
; %bb.6:                                ;   in Loop: Header=BB41_5 Depth=1
	v_ashrrev_i32_e32 v2, 31, v1
	s_mov_b32 s34, exec_lo
	s_delay_alu instid0(VALU_DEP_1) | instskip(NEXT) | instid1(VALU_DEP_1)
	v_lshlrev_b64 v[3:4], 2, v[1:2]
	v_add_co_u32 v5, vcc_lo, s22, v3
	s_delay_alu instid0(VALU_DEP_2)
	v_add_co_ci_u32_e32 v6, vcc_lo, s23, v4, vcc_lo
	v_add_co_u32 v7, vcc_lo, s20, v3
	v_add_co_ci_u32_e32 v8, vcc_lo, s21, v4, vcc_lo
	global_load_b32 v2, v[5:6], off
	global_load_b32 v5, v[7:8], off
	s_waitcnt vmcnt(1)
	v_subrev_nc_u32_e32 v23, s30, v2
	s_waitcnt vmcnt(0)
	v_add_nc_u32_e32 v2, v22, v5
	s_delay_alu instid0(VALU_DEP_1)
	v_cmpx_lt_i32_e64 v2, v23
	s_cbranch_execz .LBB41_3
; %bb.7:                                ;   in Loop: Header=BB41_5 Depth=1
	v_add_co_u32 v5, vcc_lo, s14, v3
	v_add_co_ci_u32_e32 v6, vcc_lo, s15, v4, vcc_lo
	v_add_co_u32 v3, vcc_lo, s12, v3
	v_add_co_ci_u32_e32 v4, vcc_lo, s13, v4, vcc_lo
	s_mov_b32 s35, 0
	global_load_b32 v5, v[5:6], off
	global_load_b32 v3, v[3:4], off
	s_waitcnt vmcnt(1)
	v_subrev_nc_u32_e32 v24, s30, v5
	s_waitcnt vmcnt(0)
	v_subrev_nc_u32_e32 v25, s30, v3
	v_cmp_lt_i32_e64 s2, v3, v5
	s_branch .LBB41_9
.LBB41_8:                               ;   in Loop: Header=BB41_9 Depth=2
	s_or_b32 exec_lo, exec_lo, s3
	v_cmp_nlg_f32_e64 s36, 0x7f800000, |v7|
	v_cmp_gt_f32_e32 vcc_lo, v21, v7
	s_delay_alu instid0(VALU_DEP_2) | instskip(SKIP_1) | instid1(VALU_DEP_1)
	s_or_b32 vcc_lo, s36, vcc_lo
	v_dual_cndmask_b32 v21, v7, v21 :: v_dual_add_nc_u32 v2, 8, v2
	v_cmp_ge_i32_e64 s3, v2, v23
	s_delay_alu instid0(VALU_DEP_1) | instskip(NEXT) | instid1(SALU_CYCLE_1)
	s_or_b32 s35, s3, s35
	s_and_not1_b32 exec_lo, exec_lo, s35
	s_cbranch_execz .LBB41_2
.LBB41_9:                               ;   Parent Loop BB41_5 Depth=1
                                        ; =>  This Loop Header: Depth=2
                                        ;       Child Loop BB41_12 Depth 3
                                        ;       Child Loop BB41_20 Depth 3
	;; [unrolled: 1-line block ×3, first 2 shown]
	v_ashrrev_i32_e32 v3, 31, v2
	v_dual_mov_b32 v16, 0 :: v_dual_mov_b32 v17, 0
	s_delay_alu instid0(VALU_DEP_2) | instskip(NEXT) | instid1(VALU_DEP_1)
	v_lshlrev_b64 v[4:5], 2, v[2:3]
	v_add_co_u32 v4, vcc_lo, s24, v4
	s_delay_alu instid0(VALU_DEP_2) | instskip(SKIP_4) | instid1(VALU_DEP_1)
	v_add_co_ci_u32_e32 v5, vcc_lo, s25, v5, vcc_lo
	global_load_b32 v26, v[4:5], off
	v_lshlrev_b64 v[3:4], 3, v[2:3]
	s_waitcnt vmcnt(0)
	v_subrev_nc_u32_e32 v7, s30, v26
	v_ashrrev_i32_e32 v8, 31, v7
	s_delay_alu instid0(VALU_DEP_1) | instskip(NEXT) | instid1(VALU_DEP_1)
	v_lshlrev_b64 v[5:6], 2, v[7:8]
	v_add_co_u32 v8, vcc_lo, s14, v5
	s_delay_alu instid0(VALU_DEP_2)
	v_add_co_ci_u32_e32 v9, vcc_lo, s15, v6, vcc_lo
	v_add_co_u32 v10, vcc_lo, s4, v5
	v_add_co_ci_u32_e32 v11, vcc_lo, s5, v6, vcc_lo
	global_load_b32 v8, v[8:9], off
	v_add_co_u32 v5, vcc_lo, s18, v5
	v_add_co_ci_u32_e32 v6, vcc_lo, s19, v6, vcc_lo
	v_add_co_u32 v12, vcc_lo, s26, v3
	v_add_co_ci_u32_e32 v13, vcc_lo, s27, v4, vcc_lo
	global_load_b32 v10, v[10:11], off
	global_load_b32 v11, v[5:6], off
	s_waitcnt vmcnt(2)
	v_subrev_nc_u32_e32 v8, s30, v8
	s_delay_alu instid0(VALU_DEP_1) | instskip(SKIP_2) | instid1(VALU_DEP_2)
	v_ashrrev_i32_e32 v9, 31, v8
	s_waitcnt vmcnt(1)
	v_subrev_nc_u32_e32 v29, s30, v10
	v_lshlrev_b64 v[8:9], 3, v[8:9]
	s_delay_alu instid0(VALU_DEP_1) | instskip(NEXT) | instid1(VALU_DEP_2)
	v_add_co_u32 v5, vcc_lo, s10, v8
	v_add_co_ci_u32_e32 v6, vcc_lo, s11, v9, vcc_lo
	s_waitcnt vmcnt(0)
	v_cmp_lt_i32_e32 vcc_lo, v11, v10
	global_load_b64 v[14:15], v[12:13], off
	global_load_b64 v[8:9], v[5:6], off
	v_subrev_nc_u32_e32 v12, s30, v11
	v_mov_b32_e32 v10, v25
	s_and_b32 s3, s2, vcc_lo
	s_delay_alu instid0(SALU_CYCLE_1)
	s_and_saveexec_b32 s36, s3
	s_cbranch_execz .LBB41_15
; %bb.10:                               ;   in Loop: Header=BB41_9 Depth=2
	v_dual_mov_b32 v16, 0 :: v_dual_mov_b32 v17, 0
	v_mov_b32_e32 v10, v25
	s_mov_b32 s37, 0
	s_branch .LBB41_12
.LBB41_11:                              ;   in Loop: Header=BB41_12 Depth=3
	s_or_b32 exec_lo, exec_lo, s3
	v_cmp_le_i32_e32 vcc_lo, v13, v27
	v_add_co_ci_u32_e32 v10, vcc_lo, 0, v10, vcc_lo
	v_cmp_ge_i32_e32 vcc_lo, v13, v27
	v_add_co_ci_u32_e32 v12, vcc_lo, 0, v12, vcc_lo
	s_delay_alu instid0(VALU_DEP_3) | instskip(NEXT) | instid1(VALU_DEP_2)
	v_cmp_ge_i32_e32 vcc_lo, v10, v24
	v_cmp_ge_i32_e64 s3, v12, v29
	s_delay_alu instid0(VALU_DEP_1) | instskip(NEXT) | instid1(SALU_CYCLE_1)
	s_or_b32 s3, vcc_lo, s3
	s_and_b32 s3, exec_lo, s3
	s_delay_alu instid0(SALU_CYCLE_1) | instskip(NEXT) | instid1(SALU_CYCLE_1)
	s_or_b32 s37, s3, s37
	s_and_not1_b32 exec_lo, exec_lo, s37
	s_cbranch_execz .LBB41_14
.LBB41_12:                              ;   Parent Loop BB41_5 Depth=1
                                        ;     Parent Loop BB41_9 Depth=2
                                        ; =>    This Inner Loop Header: Depth=3
	s_delay_alu instid0(VALU_DEP_1) | instskip(SKIP_2) | instid1(VALU_DEP_2)
	v_ashrrev_i32_e32 v11, 31, v10
	v_ashrrev_i32_e32 v13, 31, v12
	s_mov_b32 s3, exec_lo
	v_lshlrev_b64 v[27:28], 2, v[10:11]
	s_delay_alu instid0(VALU_DEP_2) | instskip(NEXT) | instid1(VALU_DEP_2)
	v_lshlrev_b64 v[5:6], 2, v[12:13]
	v_add_co_u32 v27, vcc_lo, s16, v27
	s_delay_alu instid0(VALU_DEP_3) | instskip(NEXT) | instid1(VALU_DEP_3)
	v_add_co_ci_u32_e32 v28, vcc_lo, s17, v28, vcc_lo
	v_add_co_u32 v30, vcc_lo, s6, v5
	s_delay_alu instid0(VALU_DEP_4)
	v_add_co_ci_u32_e32 v31, vcc_lo, s7, v6, vcc_lo
	global_load_b32 v13, v[27:28], off
	global_load_b32 v27, v[30:31], off
	s_waitcnt vmcnt(0)
	v_cmpx_eq_u32_e64 v13, v27
	s_cbranch_execz .LBB41_11
; %bb.13:                               ;   in Loop: Header=BB41_12 Depth=3
	v_add_co_u32 v5, vcc_lo, s8, v5
	v_add_co_ci_u32_e32 v6, vcc_lo, s9, v6, vcc_lo
	v_lshlrev_b64 v[30:31], 3, v[10:11]
	global_load_b32 v5, v[5:6], off
	v_add_co_u32 v30, vcc_lo, s10, v30
	v_add_co_ci_u32_e32 v31, vcc_lo, s11, v31, vcc_lo
	s_waitcnt vmcnt(0)
	v_ashrrev_i32_e32 v6, 31, v5
	s_delay_alu instid0(VALU_DEP_1) | instskip(NEXT) | instid1(VALU_DEP_1)
	v_lshlrev_b64 v[5:6], 3, v[5:6]
	v_add_co_u32 v5, vcc_lo, s10, v5
	s_delay_alu instid0(VALU_DEP_2)
	v_add_co_ci_u32_e32 v6, vcc_lo, s11, v6, vcc_lo
	s_clause 0x1
	global_load_b64 v[30:31], v[30:31], off
	global_load_b64 v[5:6], v[5:6], off
	s_waitcnt vmcnt(0)
	v_fmac_f32_e32 v16, v30, v5
	v_fmac_f32_e32 v17, v31, v5
	s_delay_alu instid0(VALU_DEP_2) | instskip(NEXT) | instid1(VALU_DEP_2)
	v_fma_f32 v16, -v31, v6, v16
	v_fmac_f32_e32 v17, v30, v6
	s_branch .LBB41_11
.LBB41_14:                              ;   in Loop: Header=BB41_9 Depth=2
	s_or_b32 exec_lo, exec_lo, s37
.LBB41_15:                              ;   in Loop: Header=BB41_9 Depth=2
	s_delay_alu instid0(SALU_CYCLE_1)
	s_or_b32 exec_lo, exec_lo, s36
	s_waitcnt vmcnt(1)
	v_dual_sub_f32 v5, v14, v16 :: v_dual_sub_f32 v6, v15, v17
	s_mov_b32 s3, exec_lo
	v_cmpx_gt_i32_e64 v1, v7
	s_cbranch_execz .LBB41_17
; %bb.16:                               ;   in Loop: Header=BB41_9 Depth=2
	s_waitcnt vmcnt(0)
	v_mul_f32_e32 v11, v9, v9
	s_delay_alu instid0(VALU_DEP_1) | instskip(NEXT) | instid1(VALU_DEP_1)
	v_fmac_f32_e32 v11, v8, v8
	v_div_scale_f32 v13, null, v11, v11, 1.0
	v_div_scale_f32 v30, vcc_lo, 1.0, v11, 1.0
	s_delay_alu instid0(VALU_DEP_2) | instskip(SKIP_2) | instid1(VALU_DEP_1)
	v_rcp_f32_e32 v27, v13
	s_waitcnt_depctr 0xfff
	v_fma_f32 v28, -v13, v27, 1.0
	v_fmac_f32_e32 v27, v28, v27
	s_delay_alu instid0(VALU_DEP_1) | instskip(NEXT) | instid1(VALU_DEP_1)
	v_mul_f32_e32 v28, v30, v27
	v_fma_f32 v31, -v13, v28, v30
	s_delay_alu instid0(VALU_DEP_1) | instskip(NEXT) | instid1(VALU_DEP_1)
	v_fmac_f32_e32 v28, v31, v27
	v_fma_f32 v13, -v13, v28, v30
	s_delay_alu instid0(VALU_DEP_1) | instskip(SKIP_1) | instid1(VALU_DEP_2)
	v_div_fmas_f32 v13, v13, v27, v28
	v_mul_f32_e64 v28, v9, -v5
	v_div_fixup_f32 v11, v13, v11, 1.0
	s_delay_alu instid0(VALU_DEP_2) | instskip(NEXT) | instid1(VALU_DEP_1)
	v_dual_fmac_f32 v28, v6, v8 :: v_dual_mul_f32 v27, v9, v6
	v_mul_f32_e32 v6, v11, v28
	s_delay_alu instid0(VALU_DEP_2) | instskip(NEXT) | instid1(VALU_DEP_1)
	v_fmac_f32_e32 v27, v5, v8
	v_mul_f32_e32 v5, v11, v27
.LBB41_17:                              ;   in Loop: Header=BB41_9 Depth=2
	s_or_b32 exec_lo, exec_lo, s3
	v_dual_sub_f32 v27, v16, v14 :: v_dual_sub_f32 v28, v17, v15
	s_mov_b32 s36, exec_lo
	v_cmpx_lt_i32_e64 v12, v29
	s_cbranch_execz .LBB41_25
; %bb.18:                               ;   in Loop: Header=BB41_9 Depth=2
	v_ashrrev_i32_e32 v13, 31, v12
	s_mov_b32 s38, 0
                                        ; implicit-def: $sgpr37
                                        ; implicit-def: $sgpr40
                                        ; implicit-def: $sgpr39
	s_delay_alu instid0(VALU_DEP_1) | instskip(NEXT) | instid1(VALU_DEP_1)
	v_lshlrev_b64 v[14:15], 2, v[12:13]
	v_add_co_u32 v14, vcc_lo, s6, v14
	s_delay_alu instid0(VALU_DEP_2)
	v_add_co_ci_u32_e32 v15, vcc_lo, s7, v15, vcc_lo
	s_set_inst_prefetch_distance 0x1
	s_branch .LBB41_20
	.p2align	6
.LBB41_19:                              ;   in Loop: Header=BB41_20 Depth=3
	s_or_b32 exec_lo, exec_lo, s41
	s_delay_alu instid0(SALU_CYCLE_1) | instskip(NEXT) | instid1(SALU_CYCLE_1)
	s_and_b32 s3, exec_lo, s40
	s_or_b32 s38, s3, s38
	s_and_not1_b32 s3, s37, exec_lo
	s_and_b32 s37, s39, exec_lo
	s_delay_alu instid0(SALU_CYCLE_1)
	s_or_b32 s37, s3, s37
	s_and_not1_b32 exec_lo, exec_lo, s38
	s_cbranch_execz .LBB41_22
.LBB41_20:                              ;   Parent Loop BB41_5 Depth=1
                                        ;     Parent Loop BB41_9 Depth=2
                                        ; =>    This Inner Loop Header: Depth=3
	global_load_b32 v11, v[14:15], off
	v_dual_mov_b32 v17, v13 :: v_dual_mov_b32 v16, v12
	s_or_b32 s39, s39, exec_lo
	s_or_b32 s40, s40, exec_lo
	s_mov_b32 s41, exec_lo
                                        ; implicit-def: $vgpr12_vgpr13
	s_waitcnt vmcnt(0)
	v_subrev_nc_u32_e32 v11, s30, v11
	s_delay_alu instid0(VALU_DEP_1)
	v_cmpx_ne_u32_e64 v11, v1
	s_cbranch_execz .LBB41_19
; %bb.21:                               ;   in Loop: Header=BB41_20 Depth=3
	v_add_co_u32 v12, vcc_lo, v16, 1
	v_add_co_ci_u32_e32 v13, vcc_lo, 0, v17, vcc_lo
	v_add_co_u32 v14, s3, v14, 4
	s_delay_alu instid0(VALU_DEP_3) | instskip(SKIP_4) | instid1(SALU_CYCLE_1)
	v_cmp_ge_i32_e32 vcc_lo, v12, v29
	v_add_co_ci_u32_e64 v15, s3, 0, v15, s3
	s_and_not1_b32 s3, s40, exec_lo
	s_and_not1_b32 s39, s39, exec_lo
	s_and_b32 s40, vcc_lo, exec_lo
	s_or_b32 s40, s3, s40
	s_branch .LBB41_19
.LBB41_22:                              ;   in Loop: Header=BB41_9 Depth=2
	s_set_inst_prefetch_distance 0x2
	s_or_b32 exec_lo, exec_lo, s38
	s_and_saveexec_b32 s3, s37
	s_delay_alu instid0(SALU_CYCLE_1)
	s_xor_b32 s3, exec_lo, s3
	s_cbranch_execz .LBB41_24
; %bb.23:                               ;   in Loop: Header=BB41_9 Depth=2
	v_lshlrev_b64 v[11:12], 2, v[16:17]
	s_delay_alu instid0(VALU_DEP_1) | instskip(NEXT) | instid1(VALU_DEP_2)
	v_add_co_u32 v11, vcc_lo, s8, v11
	v_add_co_ci_u32_e32 v12, vcc_lo, s9, v12, vcc_lo
	global_load_b32 v11, v[11:12], off
	s_waitcnt vmcnt(0)
	v_ashrrev_i32_e32 v12, 31, v11
	s_delay_alu instid0(VALU_DEP_1) | instskip(NEXT) | instid1(VALU_DEP_1)
	v_lshlrev_b64 v[11:12], 3, v[11:12]
	v_add_co_u32 v11, vcc_lo, s10, v11
	s_delay_alu instid0(VALU_DEP_2)
	v_add_co_ci_u32_e32 v12, vcc_lo, s11, v12, vcc_lo
	global_load_b64 v[11:12], v[11:12], off
	s_waitcnt vmcnt(0)
	v_dual_add_f32 v27, v27, v11 :: v_dual_add_f32 v28, v28, v12
.LBB41_24:                              ;   in Loop: Header=BB41_9 Depth=2
	s_or_b32 exec_lo, exec_lo, s3
.LBB41_25:                              ;   in Loop: Header=BB41_9 Depth=2
	s_delay_alu instid0(SALU_CYCLE_1) | instskip(NEXT) | instid1(SALU_CYCLE_1)
	s_or_b32 exec_lo, exec_lo, s36
	s_mov_b32 s36, exec_lo
	v_cmpx_lt_i32_e64 v10, v24
	s_cbranch_execz .LBB41_33
; %bb.26:                               ;   in Loop: Header=BB41_9 Depth=2
	v_ashrrev_i32_e32 v11, 31, v10
	s_mov_b32 s38, 0
                                        ; implicit-def: $sgpr37
                                        ; implicit-def: $sgpr40
                                        ; implicit-def: $sgpr39
	s_delay_alu instid0(VALU_DEP_1) | instskip(NEXT) | instid1(VALU_DEP_1)
	v_lshlrev_b64 v[12:13], 2, v[10:11]
	v_add_co_u32 v12, vcc_lo, s16, v12
	s_delay_alu instid0(VALU_DEP_2)
	v_add_co_ci_u32_e32 v13, vcc_lo, s17, v13, vcc_lo
	s_set_inst_prefetch_distance 0x1
	s_branch .LBB41_28
	.p2align	6
.LBB41_27:                              ;   in Loop: Header=BB41_28 Depth=3
	s_or_b32 exec_lo, exec_lo, s41
	s_delay_alu instid0(SALU_CYCLE_1) | instskip(NEXT) | instid1(SALU_CYCLE_1)
	s_and_b32 s3, exec_lo, s40
	s_or_b32 s38, s3, s38
	s_and_not1_b32 s3, s37, exec_lo
	s_and_b32 s37, s39, exec_lo
	s_delay_alu instid0(SALU_CYCLE_1)
	s_or_b32 s37, s3, s37
	s_and_not1_b32 exec_lo, exec_lo, s38
	s_cbranch_execz .LBB41_30
.LBB41_28:                              ;   Parent Loop BB41_5 Depth=1
                                        ;     Parent Loop BB41_9 Depth=2
                                        ; =>    This Inner Loop Header: Depth=3
	global_load_b32 v16, v[12:13], off
	v_dual_mov_b32 v15, v11 :: v_dual_mov_b32 v14, v10
	s_or_b32 s39, s39, exec_lo
	s_or_b32 s40, s40, exec_lo
	s_mov_b32 s41, exec_lo
                                        ; implicit-def: $vgpr10_vgpr11
	s_waitcnt vmcnt(0)
	v_cmpx_ne_u32_e64 v16, v26
	s_cbranch_execz .LBB41_27
; %bb.29:                               ;   in Loop: Header=BB41_28 Depth=3
	v_add_co_u32 v10, vcc_lo, v14, 1
	v_add_co_ci_u32_e32 v11, vcc_lo, 0, v15, vcc_lo
	v_add_co_u32 v12, s3, v12, 4
	s_delay_alu instid0(VALU_DEP_3) | instskip(SKIP_4) | instid1(SALU_CYCLE_1)
	v_cmp_ge_i32_e32 vcc_lo, v10, v24
	v_add_co_ci_u32_e64 v13, s3, 0, v13, s3
	s_and_not1_b32 s3, s40, exec_lo
	s_and_not1_b32 s39, s39, exec_lo
	s_and_b32 s40, vcc_lo, exec_lo
	s_or_b32 s40, s3, s40
	s_branch .LBB41_27
.LBB41_30:                              ;   in Loop: Header=BB41_9 Depth=2
	s_set_inst_prefetch_distance 0x2
	s_or_b32 exec_lo, exec_lo, s38
	s_and_saveexec_b32 s3, s37
	s_delay_alu instid0(SALU_CYCLE_1)
	s_xor_b32 s3, exec_lo, s3
	s_cbranch_execz .LBB41_32
; %bb.31:                               ;   in Loop: Header=BB41_9 Depth=2
	v_lshlrev_b64 v[10:11], 3, v[14:15]
	s_delay_alu instid0(VALU_DEP_1) | instskip(NEXT) | instid1(VALU_DEP_2)
	v_add_co_u32 v10, vcc_lo, s10, v10
	v_add_co_ci_u32_e32 v11, vcc_lo, s11, v11, vcc_lo
	global_load_b64 v[10:11], v[10:11], off
	s_waitcnt vmcnt(0)
	v_fmac_f32_e32 v27, v10, v8
	v_fmac_f32_e32 v28, v11, v8
	s_delay_alu instid0(VALU_DEP_2) | instskip(NEXT) | instid1(VALU_DEP_2)
	v_fma_f32 v27, -v11, v9, v27
	v_fmac_f32_e32 v28, v10, v9
.LBB41_32:                              ;   in Loop: Header=BB41_9 Depth=2
	s_or_b32 exec_lo, exec_lo, s3
.LBB41_33:                              ;   in Loop: Header=BB41_9 Depth=2
	s_delay_alu instid0(SALU_CYCLE_1) | instskip(SKIP_1) | instid1(VALU_DEP_1)
	s_or_b32 exec_lo, exec_lo, s36
	s_waitcnt vmcnt(0)
	v_dual_add_f32 v8, v8, v27 :: v_dual_add_f32 v9, v9, v28
	v_cmp_eq_u32_e32 vcc_lo, v1, v7
	s_mov_b32 s3, exec_lo
	s_delay_alu instid0(VALU_DEP_2) | instskip(NEXT) | instid1(VALU_DEP_1)
	v_dual_cndmask_b32 v10, v28, v9 :: v_dual_cndmask_b32 v7, v27, v8
	v_cmp_gt_f32_e32 vcc_lo, 0, v7
	v_cndmask_b32_e64 v8, v7, -v7, vcc_lo
	s_delay_alu instid0(VALU_DEP_3) | instskip(SKIP_1) | instid1(VALU_DEP_1)
	v_cmp_gt_f32_e32 vcc_lo, 0, v10
                                        ; implicit-def: $vgpr7
	v_cndmask_b32_e64 v9, v10, -v10, vcc_lo
	v_cmpx_ngt_f32_e32 v8, v9
	s_xor_b32 s36, exec_lo, s3
	s_cbranch_execz .LBB41_37
; %bb.34:                               ;   in Loop: Header=BB41_9 Depth=2
	v_mov_b32_e32 v7, 0
	s_mov_b32 s37, exec_lo
	v_cmpx_neq_f32_e32 0, v10
	s_cbranch_execz .LBB41_36
; %bb.35:                               ;   in Loop: Header=BB41_9 Depth=2
	v_div_scale_f32 v7, null, v9, v9, v8
	v_div_scale_f32 v12, vcc_lo, v8, v9, v8
	s_delay_alu instid0(VALU_DEP_2) | instskip(SKIP_2) | instid1(VALU_DEP_1)
	v_rcp_f32_e32 v10, v7
	s_waitcnt_depctr 0xfff
	v_fma_f32 v11, -v7, v10, 1.0
	v_fmac_f32_e32 v10, v11, v10
	s_delay_alu instid0(VALU_DEP_1) | instskip(NEXT) | instid1(VALU_DEP_1)
	v_mul_f32_e32 v11, v12, v10
	v_fma_f32 v13, -v7, v11, v12
	s_delay_alu instid0(VALU_DEP_1) | instskip(NEXT) | instid1(VALU_DEP_1)
	v_fmac_f32_e32 v11, v13, v10
	v_fma_f32 v7, -v7, v11, v12
	s_delay_alu instid0(VALU_DEP_1) | instskip(NEXT) | instid1(VALU_DEP_1)
	v_div_fmas_f32 v7, v7, v10, v11
	v_div_fixup_f32 v7, v7, v9, v8
	s_delay_alu instid0(VALU_DEP_1) | instskip(NEXT) | instid1(VALU_DEP_1)
	v_fma_f32 v7, v7, v7, 1.0
	v_mul_f32_e32 v8, 0x4f800000, v7
	v_cmp_gt_f32_e32 vcc_lo, 0xf800000, v7
	s_delay_alu instid0(VALU_DEP_2) | instskip(NEXT) | instid1(VALU_DEP_1)
	v_cndmask_b32_e32 v7, v7, v8, vcc_lo
	v_sqrt_f32_e32 v8, v7
	s_waitcnt_depctr 0xfff
	v_add_nc_u32_e32 v10, -1, v8
	v_add_nc_u32_e32 v11, 1, v8
	s_delay_alu instid0(VALU_DEP_2) | instskip(NEXT) | instid1(VALU_DEP_2)
	v_fma_f32 v12, -v10, v8, v7
	v_fma_f32 v13, -v11, v8, v7
	s_delay_alu instid0(VALU_DEP_2) | instskip(NEXT) | instid1(VALU_DEP_1)
	v_cmp_ge_f32_e64 s3, 0, v12
	v_cndmask_b32_e64 v8, v8, v10, s3
	s_delay_alu instid0(VALU_DEP_3) | instskip(NEXT) | instid1(VALU_DEP_1)
	v_cmp_lt_f32_e64 s3, 0, v13
	v_cndmask_b32_e64 v8, v8, v11, s3
	s_delay_alu instid0(VALU_DEP_1) | instskip(NEXT) | instid1(VALU_DEP_1)
	v_mul_f32_e32 v10, 0x37800000, v8
	v_cndmask_b32_e32 v8, v8, v10, vcc_lo
	v_cmp_class_f32_e64 vcc_lo, v7, 0x260
	s_delay_alu instid0(VALU_DEP_2) | instskip(NEXT) | instid1(VALU_DEP_1)
	v_cndmask_b32_e32 v7, v8, v7, vcc_lo
	v_mul_f32_e32 v7, v9, v7
.LBB41_36:                              ;   in Loop: Header=BB41_9 Depth=2
	s_or_b32 exec_lo, exec_lo, s37
                                        ; implicit-def: $vgpr8
                                        ; implicit-def: $vgpr9
.LBB41_37:                              ;   in Loop: Header=BB41_9 Depth=2
	s_and_not1_saveexec_b32 s36, s36
	s_cbranch_execz .LBB41_39
; %bb.38:                               ;   in Loop: Header=BB41_9 Depth=2
	v_div_scale_f32 v7, null, v8, v8, v9
	v_div_scale_f32 v12, vcc_lo, v9, v8, v9
	s_delay_alu instid0(VALU_DEP_2) | instskip(SKIP_2) | instid1(VALU_DEP_1)
	v_rcp_f32_e32 v10, v7
	s_waitcnt_depctr 0xfff
	v_fma_f32 v11, -v7, v10, 1.0
	v_fmac_f32_e32 v10, v11, v10
	s_delay_alu instid0(VALU_DEP_1) | instskip(NEXT) | instid1(VALU_DEP_1)
	v_mul_f32_e32 v11, v12, v10
	v_fma_f32 v13, -v7, v11, v12
	s_delay_alu instid0(VALU_DEP_1) | instskip(NEXT) | instid1(VALU_DEP_1)
	v_fmac_f32_e32 v11, v13, v10
	v_fma_f32 v7, -v7, v11, v12
	s_delay_alu instid0(VALU_DEP_1) | instskip(NEXT) | instid1(VALU_DEP_1)
	v_div_fmas_f32 v7, v7, v10, v11
	v_div_fixup_f32 v7, v7, v8, v9
	s_delay_alu instid0(VALU_DEP_1) | instskip(NEXT) | instid1(VALU_DEP_1)
	v_fma_f32 v7, v7, v7, 1.0
	v_mul_f32_e32 v9, 0x4f800000, v7
	v_cmp_gt_f32_e32 vcc_lo, 0xf800000, v7
	s_delay_alu instid0(VALU_DEP_2) | instskip(NEXT) | instid1(VALU_DEP_1)
	v_cndmask_b32_e32 v7, v7, v9, vcc_lo
	v_sqrt_f32_e32 v9, v7
	s_waitcnt_depctr 0xfff
	v_add_nc_u32_e32 v10, -1, v9
	v_add_nc_u32_e32 v11, 1, v9
	s_delay_alu instid0(VALU_DEP_2) | instskip(NEXT) | instid1(VALU_DEP_2)
	v_fma_f32 v12, -v10, v9, v7
	v_fma_f32 v13, -v11, v9, v7
	s_delay_alu instid0(VALU_DEP_2) | instskip(NEXT) | instid1(VALU_DEP_1)
	v_cmp_ge_f32_e64 s3, 0, v12
	v_cndmask_b32_e64 v9, v9, v10, s3
	s_delay_alu instid0(VALU_DEP_3) | instskip(NEXT) | instid1(VALU_DEP_1)
	v_cmp_lt_f32_e64 s3, 0, v13
	v_cndmask_b32_e64 v9, v9, v11, s3
	s_delay_alu instid0(VALU_DEP_1) | instskip(NEXT) | instid1(VALU_DEP_1)
	v_mul_f32_e32 v10, 0x37800000, v9
	v_cndmask_b32_e32 v9, v9, v10, vcc_lo
	v_cmp_class_f32_e64 vcc_lo, v7, 0x260
	s_delay_alu instid0(VALU_DEP_2) | instskip(NEXT) | instid1(VALU_DEP_1)
	v_cndmask_b32_e32 v7, v9, v7, vcc_lo
	v_mul_f32_e32 v7, v8, v7
.LBB41_39:                              ;   in Loop: Header=BB41_9 Depth=2
	s_or_b32 exec_lo, exec_lo, s36
	v_cmp_gt_f32_e32 vcc_lo, 0, v5
                                        ; implicit-def: $vgpr10
	s_mov_b32 s3, exec_lo
	v_cndmask_b32_e64 v8, v5, -v5, vcc_lo
	v_cmp_gt_f32_e32 vcc_lo, 0, v6
	v_cndmask_b32_e64 v9, v6, -v6, vcc_lo
	s_delay_alu instid0(VALU_DEP_1)
	v_cmpx_ngt_f32_e32 v8, v9
	s_xor_b32 s36, exec_lo, s3
	s_cbranch_execnz .LBB41_42
; %bb.40:                               ;   in Loop: Header=BB41_9 Depth=2
	s_and_not1_saveexec_b32 s36, s36
	s_cbranch_execnz .LBB41_45
.LBB41_41:                              ;   in Loop: Header=BB41_9 Depth=2
	s_or_b32 exec_lo, exec_lo, s36
	v_cmp_class_f32_e64 s36, v10, 0x1f8
	s_delay_alu instid0(VALU_DEP_1)
	s_and_saveexec_b32 s3, s36
	s_cbranch_execz .LBB41_8
	s_branch .LBB41_46
.LBB41_42:                              ;   in Loop: Header=BB41_9 Depth=2
	v_mov_b32_e32 v10, 0
	s_mov_b32 s37, exec_lo
	v_cmpx_neq_f32_e32 0, v6
	s_cbranch_execz .LBB41_44
; %bb.43:                               ;   in Loop: Header=BB41_9 Depth=2
	v_div_scale_f32 v10, null, v9, v9, v8
	v_div_scale_f32 v13, vcc_lo, v8, v9, v8
	s_delay_alu instid0(VALU_DEP_2) | instskip(SKIP_2) | instid1(VALU_DEP_1)
	v_rcp_f32_e32 v11, v10
	s_waitcnt_depctr 0xfff
	v_fma_f32 v12, -v10, v11, 1.0
	v_fmac_f32_e32 v11, v12, v11
	s_delay_alu instid0(VALU_DEP_1) | instskip(NEXT) | instid1(VALU_DEP_1)
	v_mul_f32_e32 v12, v13, v11
	v_fma_f32 v14, -v10, v12, v13
	s_delay_alu instid0(VALU_DEP_1) | instskip(NEXT) | instid1(VALU_DEP_1)
	v_fmac_f32_e32 v12, v14, v11
	v_fma_f32 v10, -v10, v12, v13
	s_delay_alu instid0(VALU_DEP_1) | instskip(NEXT) | instid1(VALU_DEP_1)
	v_div_fmas_f32 v10, v10, v11, v12
	v_div_fixup_f32 v8, v10, v9, v8
	s_delay_alu instid0(VALU_DEP_1) | instskip(NEXT) | instid1(VALU_DEP_1)
	v_fma_f32 v8, v8, v8, 1.0
	v_mul_f32_e32 v10, 0x4f800000, v8
	v_cmp_gt_f32_e32 vcc_lo, 0xf800000, v8
	s_delay_alu instid0(VALU_DEP_2) | instskip(NEXT) | instid1(VALU_DEP_1)
	v_cndmask_b32_e32 v8, v8, v10, vcc_lo
	v_sqrt_f32_e32 v10, v8
	s_waitcnt_depctr 0xfff
	v_add_nc_u32_e32 v11, -1, v10
	v_add_nc_u32_e32 v12, 1, v10
	s_delay_alu instid0(VALU_DEP_2) | instskip(NEXT) | instid1(VALU_DEP_2)
	v_fma_f32 v13, -v11, v10, v8
	v_fma_f32 v14, -v12, v10, v8
	s_delay_alu instid0(VALU_DEP_2) | instskip(NEXT) | instid1(VALU_DEP_1)
	v_cmp_ge_f32_e64 s3, 0, v13
	v_cndmask_b32_e64 v10, v10, v11, s3
	s_delay_alu instid0(VALU_DEP_3) | instskip(NEXT) | instid1(VALU_DEP_1)
	v_cmp_lt_f32_e64 s3, 0, v14
	v_cndmask_b32_e64 v10, v10, v12, s3
	s_delay_alu instid0(VALU_DEP_1) | instskip(NEXT) | instid1(VALU_DEP_1)
	v_mul_f32_e32 v11, 0x37800000, v10
	v_cndmask_b32_e32 v10, v10, v11, vcc_lo
	v_cmp_class_f32_e64 vcc_lo, v8, 0x260
	s_delay_alu instid0(VALU_DEP_2) | instskip(NEXT) | instid1(VALU_DEP_1)
	v_cndmask_b32_e32 v8, v10, v8, vcc_lo
	v_mul_f32_e32 v10, v9, v8
.LBB41_44:                              ;   in Loop: Header=BB41_9 Depth=2
	s_or_b32 exec_lo, exec_lo, s37
                                        ; implicit-def: $vgpr8
                                        ; implicit-def: $vgpr9
	s_and_not1_saveexec_b32 s36, s36
	s_cbranch_execz .LBB41_41
.LBB41_45:                              ;   in Loop: Header=BB41_9 Depth=2
	v_div_scale_f32 v10, null, v8, v8, v9
	v_div_scale_f32 v13, vcc_lo, v9, v8, v9
	s_delay_alu instid0(VALU_DEP_2) | instskip(SKIP_2) | instid1(VALU_DEP_1)
	v_rcp_f32_e32 v11, v10
	s_waitcnt_depctr 0xfff
	v_fma_f32 v12, -v10, v11, 1.0
	v_fmac_f32_e32 v11, v12, v11
	s_delay_alu instid0(VALU_DEP_1) | instskip(NEXT) | instid1(VALU_DEP_1)
	v_mul_f32_e32 v12, v13, v11
	v_fma_f32 v14, -v10, v12, v13
	s_delay_alu instid0(VALU_DEP_1) | instskip(NEXT) | instid1(VALU_DEP_1)
	v_fmac_f32_e32 v12, v14, v11
	v_fma_f32 v10, -v10, v12, v13
	s_delay_alu instid0(VALU_DEP_1) | instskip(NEXT) | instid1(VALU_DEP_1)
	v_div_fmas_f32 v10, v10, v11, v12
	v_div_fixup_f32 v9, v10, v8, v9
	s_delay_alu instid0(VALU_DEP_1) | instskip(NEXT) | instid1(VALU_DEP_1)
	v_fma_f32 v9, v9, v9, 1.0
	v_mul_f32_e32 v10, 0x4f800000, v9
	v_cmp_gt_f32_e32 vcc_lo, 0xf800000, v9
	s_delay_alu instid0(VALU_DEP_2) | instskip(NEXT) | instid1(VALU_DEP_1)
	v_cndmask_b32_e32 v9, v9, v10, vcc_lo
	v_sqrt_f32_e32 v10, v9
	s_waitcnt_depctr 0xfff
	v_add_nc_u32_e32 v11, -1, v10
	v_add_nc_u32_e32 v12, 1, v10
	s_delay_alu instid0(VALU_DEP_2) | instskip(NEXT) | instid1(VALU_DEP_2)
	v_fma_f32 v13, -v11, v10, v9
	v_fma_f32 v14, -v12, v10, v9
	s_delay_alu instid0(VALU_DEP_2) | instskip(NEXT) | instid1(VALU_DEP_1)
	v_cmp_ge_f32_e64 s3, 0, v13
	v_cndmask_b32_e64 v10, v10, v11, s3
	s_delay_alu instid0(VALU_DEP_3) | instskip(NEXT) | instid1(VALU_DEP_1)
	v_cmp_lt_f32_e64 s3, 0, v14
	v_cndmask_b32_e64 v10, v10, v12, s3
	s_delay_alu instid0(VALU_DEP_1) | instskip(NEXT) | instid1(VALU_DEP_1)
	v_mul_f32_e32 v11, 0x37800000, v10
	v_cndmask_b32_e32 v10, v10, v11, vcc_lo
	v_cmp_class_f32_e64 vcc_lo, v9, 0x260
	s_delay_alu instid0(VALU_DEP_2) | instskip(NEXT) | instid1(VALU_DEP_1)
	v_cndmask_b32_e32 v9, v10, v9, vcc_lo
	v_mul_f32_e32 v10, v8, v9
	s_or_b32 exec_lo, exec_lo, s36
	s_delay_alu instid0(VALU_DEP_1) | instskip(NEXT) | instid1(VALU_DEP_1)
	v_cmp_class_f32_e64 s36, v10, 0x1f8
	s_and_saveexec_b32 s3, s36
	s_cbranch_execz .LBB41_8
.LBB41_46:                              ;   in Loop: Header=BB41_9 Depth=2
	v_add_co_u32 v3, vcc_lo, s10, v3
	v_add_co_ci_u32_e32 v4, vcc_lo, s11, v4, vcc_lo
	global_store_b64 v[3:4], v[5:6], off
	s_branch .LBB41_8
.LBB41_47:
	s_or_b32 exec_lo, exec_lo, s29
	v_mbcnt_lo_u32_b32 v1, -1, 0
	s_mov_b32 s2, exec_lo
	s_delay_alu instid0(VALU_DEP_1) | instskip(SKIP_2) | instid1(VALU_DEP_3)
	v_xor_b32_e32 v2, 4, v1
	v_xor_b32_e32 v3, 2, v1
	;; [unrolled: 1-line block ×3, first 2 shown]
	v_cmp_gt_i32_e32 vcc_lo, 32, v2
	v_cndmask_b32_e32 v2, v1, v2, vcc_lo
	s_delay_alu instid0(VALU_DEP_4) | instskip(SKIP_1) | instid1(VALU_DEP_1)
	v_cmp_gt_i32_e32 vcc_lo, 32, v3
	v_cndmask_b32_e32 v3, v1, v3, vcc_lo
	v_lshlrev_b32_e32 v3, 2, v3
	s_delay_alu instid0(VALU_DEP_4)
	v_lshlrev_b32_e32 v2, 2, v2
	ds_bpermute_b32 v2, v2, v21
	s_waitcnt lgkmcnt(0)
	v_cmp_lt_f32_e32 vcc_lo, v21, v2
	v_cndmask_b32_e32 v2, v21, v2, vcc_lo
	v_cmp_gt_i32_e32 vcc_lo, 32, v4
	ds_bpermute_b32 v3, v3, v2
	v_cndmask_b32_e32 v4, v1, v4, vcc_lo
	s_waitcnt lgkmcnt(0)
	v_cmp_lt_f32_e32 vcc_lo, v2, v3
	s_delay_alu instid0(VALU_DEP_2)
	v_dual_cndmask_b32 v1, v2, v3 :: v_dual_lshlrev_b32 v2, 2, v4
	ds_bpermute_b32 v2, v2, v1
	v_cmpx_eq_u32_e32 7, v19
	s_cbranch_execz .LBB41_49
; %bb.48:
	s_waitcnt lgkmcnt(0)
	v_cmp_lt_f32_e32 vcc_lo, v1, v2
	v_lshlrev_b32_e32 v3, 2, v18
	v_cndmask_b32_e32 v1, v1, v2, vcc_lo
	ds_store_b32 v3, v1
.LBB41_49:
	s_or_b32 exec_lo, exec_lo, s2
	v_lshlrev_b32_e32 v1, 2, v0
	s_mov_b32 s2, exec_lo
	s_waitcnt lgkmcnt(0)
	s_waitcnt_vscnt null, 0x0
	s_barrier
	buffer_gl0_inv
	v_cmpx_gt_u32_e32 64, v0
	s_cbranch_execz .LBB41_51
; %bb.50:
	ds_load_2addr_stride64_b32 v[2:3], v1 offset1:1
	s_waitcnt lgkmcnt(0)
	v_cmp_lt_f32_e32 vcc_lo, v2, v3
	v_cndmask_b32_e32 v2, v2, v3, vcc_lo
	ds_store_b32 v1, v2
.LBB41_51:
	s_or_b32 exec_lo, exec_lo, s2
	s_delay_alu instid0(SALU_CYCLE_1)
	s_mov_b32 s2, exec_lo
	s_waitcnt lgkmcnt(0)
	s_barrier
	buffer_gl0_inv
	v_cmpx_gt_u32_e32 32, v0
	s_cbranch_execz .LBB41_53
; %bb.52:
	ds_load_2addr_b32 v[2:3], v1 offset1:32
	s_waitcnt lgkmcnt(0)
	v_cmp_lt_f32_e32 vcc_lo, v2, v3
	v_cndmask_b32_e32 v2, v2, v3, vcc_lo
	ds_store_b32 v1, v2
.LBB41_53:
	s_or_b32 exec_lo, exec_lo, s2
	s_delay_alu instid0(SALU_CYCLE_1)
	s_mov_b32 s2, exec_lo
	s_waitcnt lgkmcnt(0)
	s_barrier
	buffer_gl0_inv
	v_cmpx_gt_u32_e32 16, v0
	s_cbranch_execz .LBB41_55
; %bb.54:
	ds_load_2addr_b32 v[2:3], v1 offset1:16
	s_waitcnt lgkmcnt(0)
	v_cmp_lt_f32_e32 vcc_lo, v2, v3
	v_cndmask_b32_e32 v2, v2, v3, vcc_lo
	ds_store_b32 v1, v2
.LBB41_55:
	s_or_b32 exec_lo, exec_lo, s2
	s_delay_alu instid0(SALU_CYCLE_1)
	s_mov_b32 s2, exec_lo
	s_waitcnt lgkmcnt(0)
	s_barrier
	buffer_gl0_inv
	v_cmpx_gt_u32_e32 8, v0
	s_cbranch_execz .LBB41_57
; %bb.56:
	ds_load_2addr_b32 v[2:3], v1 offset1:8
	s_waitcnt lgkmcnt(0)
	v_cmp_lt_f32_e32 vcc_lo, v2, v3
	v_cndmask_b32_e32 v2, v2, v3, vcc_lo
	ds_store_b32 v1, v2
.LBB41_57:
	s_or_b32 exec_lo, exec_lo, s2
	s_delay_alu instid0(SALU_CYCLE_1)
	s_mov_b32 s2, exec_lo
	s_waitcnt lgkmcnt(0)
	s_barrier
	buffer_gl0_inv
	v_cmpx_gt_u32_e32 4, v0
	s_cbranch_execz .LBB41_59
; %bb.58:
	ds_load_2addr_b32 v[2:3], v1 offset1:4
	s_waitcnt lgkmcnt(0)
	v_cmp_lt_f32_e32 vcc_lo, v2, v3
	v_cndmask_b32_e32 v2, v2, v3, vcc_lo
	ds_store_b32 v1, v2
.LBB41_59:
	s_or_b32 exec_lo, exec_lo, s2
	s_delay_alu instid0(SALU_CYCLE_1)
	s_mov_b32 s2, exec_lo
	s_waitcnt lgkmcnt(0)
	s_barrier
	buffer_gl0_inv
	v_cmpx_gt_u32_e32 2, v0
	s_cbranch_execz .LBB41_61
; %bb.60:
	ds_load_2addr_b32 v[2:3], v1 offset1:2
	s_waitcnt lgkmcnt(0)
	v_cmp_lt_f32_e32 vcc_lo, v2, v3
	v_cndmask_b32_e32 v2, v2, v3, vcc_lo
	ds_store_b32 v1, v2
.LBB41_61:
	s_or_b32 exec_lo, exec_lo, s2
	v_cmp_eq_u32_e32 vcc_lo, 0, v0
	s_waitcnt lgkmcnt(0)
	s_barrier
	buffer_gl0_inv
	s_and_saveexec_b32 s3, vcc_lo
	s_cbranch_execz .LBB41_63
; %bb.62:
	v_mov_b32_e32 v2, 0
	ds_load_b64 v[0:1], v2
	s_waitcnt lgkmcnt(0)
	v_cmp_lt_f32_e64 s2, v0, v1
	s_delay_alu instid0(VALU_DEP_1)
	v_cndmask_b32_e64 v0, v0, v1, s2
	ds_store_b32 v2, v0
.LBB41_63:
	s_or_b32 exec_lo, exec_lo, s3
	s_waitcnt lgkmcnt(0)
	s_barrier
	buffer_gl0_inv
	s_and_saveexec_b32 s2, vcc_lo
	s_cbranch_execz .LBB41_68
; %bb.64:
	s_load_b128 s[4:7], s[0:1], 0x70
	v_mov_b32_e32 v2, 0
	s_mov_b32 s1, 0
                                        ; implicit-def: $sgpr2
                                        ; implicit-def: $sgpr3
	ds_load_b32 v0, v2
	s_waitcnt lgkmcnt(0)
	s_load_b32 s0, s[6:7], 0x0
	s_waitcnt lgkmcnt(0)
	v_div_scale_f32 v3, null, s0, s0, v0
	v_div_scale_f32 v6, vcc_lo, v0, s0, v0
	s_delay_alu instid0(VALU_DEP_2) | instskip(SKIP_2) | instid1(VALU_DEP_1)
	v_rcp_f32_e32 v4, v3
	s_waitcnt_depctr 0xfff
	v_fma_f32 v5, -v3, v4, 1.0
	v_fmac_f32_e32 v4, v5, v4
	s_delay_alu instid0(VALU_DEP_1) | instskip(SKIP_2) | instid1(VALU_DEP_1)
	v_mul_f32_e32 v5, v6, v4
	global_load_b32 v1, v2, s[4:5] glc
	v_fma_f32 v7, -v3, v5, v6
	v_fmac_f32_e32 v5, v7, v4
	s_delay_alu instid0(VALU_DEP_1) | instskip(NEXT) | instid1(VALU_DEP_1)
	v_fma_f32 v3, -v3, v5, v6
	v_div_fmas_f32 v3, v3, v4, v5
	s_delay_alu instid0(VALU_DEP_1) | instskip(NEXT) | instid1(VALU_DEP_1)
	v_div_fixup_f32 v0, v3, s0, v0
	v_cmp_eq_f32_e32 vcc_lo, 0, v0
	s_waitcnt vmcnt(0)
	v_cmp_eq_u32_e64 s6, 0x80000000, v1
	s_set_inst_prefetch_distance 0x1
	s_branch .LBB41_66
	.p2align	6
.LBB41_65:                              ;   in Loop: Header=BB41_66 Depth=1
	s_or_b32 exec_lo, exec_lo, s7
	s_delay_alu instid0(SALU_CYCLE_1) | instskip(NEXT) | instid1(SALU_CYCLE_1)
	s_and_b32 s0, exec_lo, s2
	s_or_b32 s1, s0, s1
	s_and_not1_b32 s0, s6, exec_lo
	s_and_b32 s6, s3, exec_lo
	s_delay_alu instid0(SALU_CYCLE_1)
	s_or_b32 s6, s0, s6
	s_and_not1_b32 exec_lo, exec_lo, s1
	s_cbranch_execz .LBB41_68
.LBB41_66:                              ; =>This Inner Loop Header: Depth=1
	v_cmp_lt_f32_e64 s0, v1, v0
	s_delay_alu instid0(VALU_DEP_2) | instskip(SKIP_2) | instid1(VALU_DEP_1)
	s_and_b32 s7, vcc_lo, s6
	s_and_not1_b32 s3, s3, exec_lo
	s_or_b32 s2, s2, exec_lo
	s_or_b32 s0, s0, s7
	s_delay_alu instid0(SALU_CYCLE_1)
	s_and_saveexec_b32 s7, s0
	s_cbranch_execz .LBB41_65
; %bb.67:                               ;   in Loop: Header=BB41_66 Depth=1
	global_atomic_cmpswap_b32 v3, v2, v[0:1], s[4:5] glc
	s_and_not1_b32 s3, s3, exec_lo
	s_and_not1_b32 s2, s2, exec_lo
	s_waitcnt vmcnt(0)
	v_cmp_eq_u32_e64 s0, v3, v1
	s_delay_alu instid0(VALU_DEP_1) | instskip(SKIP_1) | instid1(SALU_CYCLE_1)
	v_cndmask_b32_e64 v1, v3, v1, s0
	s_and_b32 s0, s0, exec_lo
	s_or_b32 s2, s2, s0
	s_delay_alu instid0(VALU_DEP_1) | instskip(SKIP_1) | instid1(VALU_DEP_2)
	v_cmp_class_f32_e64 s6, v1, 32
	v_mov_b32_e32 v1, v3
	s_and_b32 s6, s6, exec_lo
	s_delay_alu instid0(SALU_CYCLE_1)
	s_or_b32 s3, s3, s6
                                        ; implicit-def: $sgpr6
	s_branch .LBB41_65
.LBB41_68:
	s_set_inst_prefetch_distance 0x2
	s_endpgm
	.section	.rodata,"a",@progbits
	.p2align	6, 0x0
	.amdhsa_kernel _ZN9rocsparseL16kernel_calculateILi1024ELi8ELb1E21rocsparse_complex_numIfEiiEEvT4_T3_PKS4_S6_PKS3_PKT2_21rocsparse_index_base_S6_S6_S8_S6_S6_S8_S6_PS9_PNS_15floating_traitsIS9_E6data_tEPKSG_
		.amdhsa_group_segment_fixed_size 512
		.amdhsa_private_segment_fixed_size 0
		.amdhsa_kernarg_size 128
		.amdhsa_user_sgpr_count 15
		.amdhsa_user_sgpr_dispatch_ptr 0
		.amdhsa_user_sgpr_queue_ptr 0
		.amdhsa_user_sgpr_kernarg_segment_ptr 1
		.amdhsa_user_sgpr_dispatch_id 0
		.amdhsa_user_sgpr_private_segment_size 0
		.amdhsa_wavefront_size32 1
		.amdhsa_uses_dynamic_stack 0
		.amdhsa_enable_private_segment 0
		.amdhsa_system_sgpr_workgroup_id_x 1
		.amdhsa_system_sgpr_workgroup_id_y 0
		.amdhsa_system_sgpr_workgroup_id_z 0
		.amdhsa_system_sgpr_workgroup_info 0
		.amdhsa_system_vgpr_workitem_id 0
		.amdhsa_next_free_vgpr 32
		.amdhsa_next_free_sgpr 42
		.amdhsa_reserve_vcc 1
		.amdhsa_float_round_mode_32 0
		.amdhsa_float_round_mode_16_64 0
		.amdhsa_float_denorm_mode_32 3
		.amdhsa_float_denorm_mode_16_64 3
		.amdhsa_dx10_clamp 1
		.amdhsa_ieee_mode 1
		.amdhsa_fp16_overflow 0
		.amdhsa_workgroup_processor_mode 1
		.amdhsa_memory_ordered 1
		.amdhsa_forward_progress 0
		.amdhsa_shared_vgpr_count 0
		.amdhsa_exception_fp_ieee_invalid_op 0
		.amdhsa_exception_fp_denorm_src 0
		.amdhsa_exception_fp_ieee_div_zero 0
		.amdhsa_exception_fp_ieee_overflow 0
		.amdhsa_exception_fp_ieee_underflow 0
		.amdhsa_exception_fp_ieee_inexact 0
		.amdhsa_exception_int_div_zero 0
	.end_amdhsa_kernel
	.section	.text._ZN9rocsparseL16kernel_calculateILi1024ELi8ELb1E21rocsparse_complex_numIfEiiEEvT4_T3_PKS4_S6_PKS3_PKT2_21rocsparse_index_base_S6_S6_S8_S6_S6_S8_S6_PS9_PNS_15floating_traitsIS9_E6data_tEPKSG_,"axG",@progbits,_ZN9rocsparseL16kernel_calculateILi1024ELi8ELb1E21rocsparse_complex_numIfEiiEEvT4_T3_PKS4_S6_PKS3_PKT2_21rocsparse_index_base_S6_S6_S8_S6_S6_S8_S6_PS9_PNS_15floating_traitsIS9_E6data_tEPKSG_,comdat
.Lfunc_end41:
	.size	_ZN9rocsparseL16kernel_calculateILi1024ELi8ELb1E21rocsparse_complex_numIfEiiEEvT4_T3_PKS4_S6_PKS3_PKT2_21rocsparse_index_base_S6_S6_S8_S6_S6_S8_S6_PS9_PNS_15floating_traitsIS9_E6data_tEPKSG_, .Lfunc_end41-_ZN9rocsparseL16kernel_calculateILi1024ELi8ELb1E21rocsparse_complex_numIfEiiEEvT4_T3_PKS4_S6_PKS3_PKT2_21rocsparse_index_base_S6_S6_S8_S6_S6_S8_S6_PS9_PNS_15floating_traitsIS9_E6data_tEPKSG_
                                        ; -- End function
	.section	.AMDGPU.csdata,"",@progbits
; Kernel info:
; codeLenInByte = 4016
; NumSgprs: 44
; NumVgprs: 32
; ScratchSize: 0
; MemoryBound: 0
; FloatMode: 240
; IeeeMode: 1
; LDSByteSize: 512 bytes/workgroup (compile time only)
; SGPRBlocks: 5
; VGPRBlocks: 3
; NumSGPRsForWavesPerEU: 44
; NumVGPRsForWavesPerEU: 32
; Occupancy: 16
; WaveLimiterHint : 1
; COMPUTE_PGM_RSRC2:SCRATCH_EN: 0
; COMPUTE_PGM_RSRC2:USER_SGPR: 15
; COMPUTE_PGM_RSRC2:TRAP_HANDLER: 0
; COMPUTE_PGM_RSRC2:TGID_X_EN: 1
; COMPUTE_PGM_RSRC2:TGID_Y_EN: 0
; COMPUTE_PGM_RSRC2:TGID_Z_EN: 0
; COMPUTE_PGM_RSRC2:TIDIG_COMP_CNT: 0
	.section	.text._ZN9rocsparseL16kernel_calculateILi1024ELi16ELb1E21rocsparse_complex_numIfEiiEEvT4_T3_PKS4_S6_PKS3_PKT2_21rocsparse_index_base_S6_S6_S8_S6_S6_S8_S6_PS9_PNS_15floating_traitsIS9_E6data_tEPKSG_,"axG",@progbits,_ZN9rocsparseL16kernel_calculateILi1024ELi16ELb1E21rocsparse_complex_numIfEiiEEvT4_T3_PKS4_S6_PKS3_PKT2_21rocsparse_index_base_S6_S6_S8_S6_S6_S8_S6_PS9_PNS_15floating_traitsIS9_E6data_tEPKSG_,comdat
	.globl	_ZN9rocsparseL16kernel_calculateILi1024ELi16ELb1E21rocsparse_complex_numIfEiiEEvT4_T3_PKS4_S6_PKS3_PKT2_21rocsparse_index_base_S6_S6_S8_S6_S6_S8_S6_PS9_PNS_15floating_traitsIS9_E6data_tEPKSG_ ; -- Begin function _ZN9rocsparseL16kernel_calculateILi1024ELi16ELb1E21rocsparse_complex_numIfEiiEEvT4_T3_PKS4_S6_PKS3_PKT2_21rocsparse_index_base_S6_S6_S8_S6_S6_S8_S6_PS9_PNS_15floating_traitsIS9_E6data_tEPKSG_
	.p2align	8
	.type	_ZN9rocsparseL16kernel_calculateILi1024ELi16ELb1E21rocsparse_complex_numIfEiiEEvT4_T3_PKS4_S6_PKS3_PKT2_21rocsparse_index_base_S6_S6_S8_S6_S6_S8_S6_PS9_PNS_15floating_traitsIS9_E6data_tEPKSG_,@function
_ZN9rocsparseL16kernel_calculateILi1024ELi16ELb1E21rocsparse_complex_numIfEiiEEvT4_T3_PKS4_S6_PKS3_PKT2_21rocsparse_index_base_S6_S6_S8_S6_S6_S8_S6_PS9_PNS_15floating_traitsIS9_E6data_tEPKSG_: ; @_ZN9rocsparseL16kernel_calculateILi1024ELi16ELb1E21rocsparse_complex_numIfEiiEEvT4_T3_PKS4_S6_PKS3_PKT2_21rocsparse_index_base_S6_S6_S8_S6_S6_S8_S6_PS9_PNS_15floating_traitsIS9_E6data_tEPKSG_
; %bb.0:
	s_load_b32 s28, s[0:1], 0x0
	v_lshrrev_b32_e32 v18, 4, v0
	v_and_b32_e32 v19, 15, v0
	v_mov_b32_e32 v21, 0
	s_mov_b32 s29, exec_lo
	s_delay_alu instid0(VALU_DEP_3) | instskip(SKIP_1) | instid1(VALU_DEP_1)
	v_lshl_or_b32 v20, s15, 10, v18
	s_waitcnt lgkmcnt(0)
	v_cmpx_gt_i32_e64 s28, v20
	s_cbranch_execz .LBB42_47
; %bb.1:
	s_clause 0x3
	s_load_b32 s30, s[0:1], 0x28
	s_load_b256 s[4:11], s[0:1], 0x50
	s_load_b256 s[12:19], s[0:1], 0x30
	;; [unrolled: 1-line block ×3, first 2 shown]
	v_mov_b32_e32 v21, 0
	s_mov_b32 s31, 0
	s_waitcnt lgkmcnt(0)
	v_subrev_nc_u32_e32 v22, s30, v19
	s_branch .LBB42_5
.LBB42_2:                               ;   in Loop: Header=BB42_5 Depth=1
	s_or_b32 exec_lo, exec_lo, s35
.LBB42_3:                               ;   in Loop: Header=BB42_5 Depth=1
	s_delay_alu instid0(SALU_CYCLE_1)
	s_or_b32 exec_lo, exec_lo, s34
.LBB42_4:                               ;   in Loop: Header=BB42_5 Depth=1
	s_delay_alu instid0(SALU_CYCLE_1) | instskip(SKIP_1) | instid1(SALU_CYCLE_1)
	s_or_b32 exec_lo, exec_lo, s33
	s_add_i32 s31, s31, 1
	s_cmp_lg_u32 s31, 16
	s_cbranch_scc0 .LBB42_47
.LBB42_5:                               ; =>This Loop Header: Depth=1
                                        ;     Child Loop BB42_9 Depth 2
                                        ;       Child Loop BB42_12 Depth 3
                                        ;       Child Loop BB42_20 Depth 3
	;; [unrolled: 1-line block ×3, first 2 shown]
	v_lshl_add_u32 v1, s31, 6, v20
	s_mov_b32 s33, exec_lo
	s_delay_alu instid0(VALU_DEP_1)
	v_cmpx_gt_i32_e64 s28, v1
	s_cbranch_execz .LBB42_4
; %bb.6:                                ;   in Loop: Header=BB42_5 Depth=1
	v_ashrrev_i32_e32 v2, 31, v1
	s_mov_b32 s34, exec_lo
	s_delay_alu instid0(VALU_DEP_1) | instskip(NEXT) | instid1(VALU_DEP_1)
	v_lshlrev_b64 v[3:4], 2, v[1:2]
	v_add_co_u32 v5, vcc_lo, s22, v3
	s_delay_alu instid0(VALU_DEP_2)
	v_add_co_ci_u32_e32 v6, vcc_lo, s23, v4, vcc_lo
	v_add_co_u32 v7, vcc_lo, s20, v3
	v_add_co_ci_u32_e32 v8, vcc_lo, s21, v4, vcc_lo
	global_load_b32 v2, v[5:6], off
	global_load_b32 v5, v[7:8], off
	s_waitcnt vmcnt(1)
	v_subrev_nc_u32_e32 v23, s30, v2
	s_waitcnt vmcnt(0)
	v_add_nc_u32_e32 v2, v22, v5
	s_delay_alu instid0(VALU_DEP_1)
	v_cmpx_lt_i32_e64 v2, v23
	s_cbranch_execz .LBB42_3
; %bb.7:                                ;   in Loop: Header=BB42_5 Depth=1
	v_add_co_u32 v5, vcc_lo, s14, v3
	v_add_co_ci_u32_e32 v6, vcc_lo, s15, v4, vcc_lo
	v_add_co_u32 v3, vcc_lo, s12, v3
	v_add_co_ci_u32_e32 v4, vcc_lo, s13, v4, vcc_lo
	s_mov_b32 s35, 0
	global_load_b32 v5, v[5:6], off
	global_load_b32 v3, v[3:4], off
	s_waitcnt vmcnt(1)
	v_subrev_nc_u32_e32 v24, s30, v5
	s_waitcnt vmcnt(0)
	v_subrev_nc_u32_e32 v25, s30, v3
	v_cmp_lt_i32_e64 s2, v3, v5
	s_branch .LBB42_9
.LBB42_8:                               ;   in Loop: Header=BB42_9 Depth=2
	s_or_b32 exec_lo, exec_lo, s3
	v_cmp_nlg_f32_e64 s36, 0x7f800000, |v7|
	v_cmp_gt_f32_e32 vcc_lo, v21, v7
	s_delay_alu instid0(VALU_DEP_2) | instskip(SKIP_1) | instid1(VALU_DEP_1)
	s_or_b32 vcc_lo, s36, vcc_lo
	v_dual_cndmask_b32 v21, v7, v21 :: v_dual_add_nc_u32 v2, 16, v2
	v_cmp_ge_i32_e64 s3, v2, v23
	s_delay_alu instid0(VALU_DEP_1) | instskip(NEXT) | instid1(SALU_CYCLE_1)
	s_or_b32 s35, s3, s35
	s_and_not1_b32 exec_lo, exec_lo, s35
	s_cbranch_execz .LBB42_2
.LBB42_9:                               ;   Parent Loop BB42_5 Depth=1
                                        ; =>  This Loop Header: Depth=2
                                        ;       Child Loop BB42_12 Depth 3
                                        ;       Child Loop BB42_20 Depth 3
	;; [unrolled: 1-line block ×3, first 2 shown]
	v_ashrrev_i32_e32 v3, 31, v2
	v_dual_mov_b32 v16, 0 :: v_dual_mov_b32 v17, 0
	s_delay_alu instid0(VALU_DEP_2) | instskip(NEXT) | instid1(VALU_DEP_1)
	v_lshlrev_b64 v[4:5], 2, v[2:3]
	v_add_co_u32 v4, vcc_lo, s24, v4
	s_delay_alu instid0(VALU_DEP_2) | instskip(SKIP_4) | instid1(VALU_DEP_1)
	v_add_co_ci_u32_e32 v5, vcc_lo, s25, v5, vcc_lo
	global_load_b32 v26, v[4:5], off
	v_lshlrev_b64 v[3:4], 3, v[2:3]
	s_waitcnt vmcnt(0)
	v_subrev_nc_u32_e32 v7, s30, v26
	v_ashrrev_i32_e32 v8, 31, v7
	s_delay_alu instid0(VALU_DEP_1) | instskip(NEXT) | instid1(VALU_DEP_1)
	v_lshlrev_b64 v[5:6], 2, v[7:8]
	v_add_co_u32 v8, vcc_lo, s14, v5
	s_delay_alu instid0(VALU_DEP_2)
	v_add_co_ci_u32_e32 v9, vcc_lo, s15, v6, vcc_lo
	v_add_co_u32 v10, vcc_lo, s4, v5
	v_add_co_ci_u32_e32 v11, vcc_lo, s5, v6, vcc_lo
	global_load_b32 v8, v[8:9], off
	v_add_co_u32 v5, vcc_lo, s18, v5
	v_add_co_ci_u32_e32 v6, vcc_lo, s19, v6, vcc_lo
	v_add_co_u32 v12, vcc_lo, s26, v3
	v_add_co_ci_u32_e32 v13, vcc_lo, s27, v4, vcc_lo
	global_load_b32 v10, v[10:11], off
	global_load_b32 v11, v[5:6], off
	s_waitcnt vmcnt(2)
	v_subrev_nc_u32_e32 v8, s30, v8
	s_delay_alu instid0(VALU_DEP_1) | instskip(SKIP_2) | instid1(VALU_DEP_2)
	v_ashrrev_i32_e32 v9, 31, v8
	s_waitcnt vmcnt(1)
	v_subrev_nc_u32_e32 v29, s30, v10
	v_lshlrev_b64 v[8:9], 3, v[8:9]
	s_delay_alu instid0(VALU_DEP_1) | instskip(NEXT) | instid1(VALU_DEP_2)
	v_add_co_u32 v5, vcc_lo, s10, v8
	v_add_co_ci_u32_e32 v6, vcc_lo, s11, v9, vcc_lo
	s_waitcnt vmcnt(0)
	v_cmp_lt_i32_e32 vcc_lo, v11, v10
	global_load_b64 v[14:15], v[12:13], off
	global_load_b64 v[8:9], v[5:6], off
	v_subrev_nc_u32_e32 v12, s30, v11
	v_mov_b32_e32 v10, v25
	s_and_b32 s3, s2, vcc_lo
	s_delay_alu instid0(SALU_CYCLE_1)
	s_and_saveexec_b32 s36, s3
	s_cbranch_execz .LBB42_15
; %bb.10:                               ;   in Loop: Header=BB42_9 Depth=2
	v_dual_mov_b32 v16, 0 :: v_dual_mov_b32 v17, 0
	v_mov_b32_e32 v10, v25
	s_mov_b32 s37, 0
	s_branch .LBB42_12
.LBB42_11:                              ;   in Loop: Header=BB42_12 Depth=3
	s_or_b32 exec_lo, exec_lo, s3
	v_cmp_le_i32_e32 vcc_lo, v13, v27
	v_add_co_ci_u32_e32 v10, vcc_lo, 0, v10, vcc_lo
	v_cmp_ge_i32_e32 vcc_lo, v13, v27
	v_add_co_ci_u32_e32 v12, vcc_lo, 0, v12, vcc_lo
	s_delay_alu instid0(VALU_DEP_3) | instskip(NEXT) | instid1(VALU_DEP_2)
	v_cmp_ge_i32_e32 vcc_lo, v10, v24
	v_cmp_ge_i32_e64 s3, v12, v29
	s_delay_alu instid0(VALU_DEP_1) | instskip(NEXT) | instid1(SALU_CYCLE_1)
	s_or_b32 s3, vcc_lo, s3
	s_and_b32 s3, exec_lo, s3
	s_delay_alu instid0(SALU_CYCLE_1) | instskip(NEXT) | instid1(SALU_CYCLE_1)
	s_or_b32 s37, s3, s37
	s_and_not1_b32 exec_lo, exec_lo, s37
	s_cbranch_execz .LBB42_14
.LBB42_12:                              ;   Parent Loop BB42_5 Depth=1
                                        ;     Parent Loop BB42_9 Depth=2
                                        ; =>    This Inner Loop Header: Depth=3
	s_delay_alu instid0(VALU_DEP_1) | instskip(SKIP_2) | instid1(VALU_DEP_2)
	v_ashrrev_i32_e32 v11, 31, v10
	v_ashrrev_i32_e32 v13, 31, v12
	s_mov_b32 s3, exec_lo
	v_lshlrev_b64 v[27:28], 2, v[10:11]
	s_delay_alu instid0(VALU_DEP_2) | instskip(NEXT) | instid1(VALU_DEP_2)
	v_lshlrev_b64 v[5:6], 2, v[12:13]
	v_add_co_u32 v27, vcc_lo, s16, v27
	s_delay_alu instid0(VALU_DEP_3) | instskip(NEXT) | instid1(VALU_DEP_3)
	v_add_co_ci_u32_e32 v28, vcc_lo, s17, v28, vcc_lo
	v_add_co_u32 v30, vcc_lo, s6, v5
	s_delay_alu instid0(VALU_DEP_4)
	v_add_co_ci_u32_e32 v31, vcc_lo, s7, v6, vcc_lo
	global_load_b32 v13, v[27:28], off
	global_load_b32 v27, v[30:31], off
	s_waitcnt vmcnt(0)
	v_cmpx_eq_u32_e64 v13, v27
	s_cbranch_execz .LBB42_11
; %bb.13:                               ;   in Loop: Header=BB42_12 Depth=3
	v_add_co_u32 v5, vcc_lo, s8, v5
	v_add_co_ci_u32_e32 v6, vcc_lo, s9, v6, vcc_lo
	v_lshlrev_b64 v[30:31], 3, v[10:11]
	global_load_b32 v5, v[5:6], off
	v_add_co_u32 v30, vcc_lo, s10, v30
	v_add_co_ci_u32_e32 v31, vcc_lo, s11, v31, vcc_lo
	s_waitcnt vmcnt(0)
	v_ashrrev_i32_e32 v6, 31, v5
	s_delay_alu instid0(VALU_DEP_1) | instskip(NEXT) | instid1(VALU_DEP_1)
	v_lshlrev_b64 v[5:6], 3, v[5:6]
	v_add_co_u32 v5, vcc_lo, s10, v5
	s_delay_alu instid0(VALU_DEP_2)
	v_add_co_ci_u32_e32 v6, vcc_lo, s11, v6, vcc_lo
	s_clause 0x1
	global_load_b64 v[30:31], v[30:31], off
	global_load_b64 v[5:6], v[5:6], off
	s_waitcnt vmcnt(0)
	v_fmac_f32_e32 v16, v30, v5
	v_fmac_f32_e32 v17, v31, v5
	s_delay_alu instid0(VALU_DEP_2) | instskip(NEXT) | instid1(VALU_DEP_2)
	v_fma_f32 v16, -v31, v6, v16
	v_fmac_f32_e32 v17, v30, v6
	s_branch .LBB42_11
.LBB42_14:                              ;   in Loop: Header=BB42_9 Depth=2
	s_or_b32 exec_lo, exec_lo, s37
.LBB42_15:                              ;   in Loop: Header=BB42_9 Depth=2
	s_delay_alu instid0(SALU_CYCLE_1)
	s_or_b32 exec_lo, exec_lo, s36
	s_waitcnt vmcnt(1)
	v_dual_sub_f32 v5, v14, v16 :: v_dual_sub_f32 v6, v15, v17
	s_mov_b32 s3, exec_lo
	v_cmpx_gt_i32_e64 v1, v7
	s_cbranch_execz .LBB42_17
; %bb.16:                               ;   in Loop: Header=BB42_9 Depth=2
	s_waitcnt vmcnt(0)
	v_mul_f32_e32 v11, v9, v9
	s_delay_alu instid0(VALU_DEP_1) | instskip(NEXT) | instid1(VALU_DEP_1)
	v_fmac_f32_e32 v11, v8, v8
	v_div_scale_f32 v13, null, v11, v11, 1.0
	v_div_scale_f32 v30, vcc_lo, 1.0, v11, 1.0
	s_delay_alu instid0(VALU_DEP_2) | instskip(SKIP_2) | instid1(VALU_DEP_1)
	v_rcp_f32_e32 v27, v13
	s_waitcnt_depctr 0xfff
	v_fma_f32 v28, -v13, v27, 1.0
	v_fmac_f32_e32 v27, v28, v27
	s_delay_alu instid0(VALU_DEP_1) | instskip(NEXT) | instid1(VALU_DEP_1)
	v_mul_f32_e32 v28, v30, v27
	v_fma_f32 v31, -v13, v28, v30
	s_delay_alu instid0(VALU_DEP_1) | instskip(NEXT) | instid1(VALU_DEP_1)
	v_fmac_f32_e32 v28, v31, v27
	v_fma_f32 v13, -v13, v28, v30
	s_delay_alu instid0(VALU_DEP_1) | instskip(SKIP_1) | instid1(VALU_DEP_2)
	v_div_fmas_f32 v13, v13, v27, v28
	v_mul_f32_e64 v28, v9, -v5
	v_div_fixup_f32 v11, v13, v11, 1.0
	s_delay_alu instid0(VALU_DEP_2) | instskip(NEXT) | instid1(VALU_DEP_1)
	v_dual_fmac_f32 v28, v6, v8 :: v_dual_mul_f32 v27, v9, v6
	v_mul_f32_e32 v6, v11, v28
	s_delay_alu instid0(VALU_DEP_2) | instskip(NEXT) | instid1(VALU_DEP_1)
	v_fmac_f32_e32 v27, v5, v8
	v_mul_f32_e32 v5, v11, v27
.LBB42_17:                              ;   in Loop: Header=BB42_9 Depth=2
	s_or_b32 exec_lo, exec_lo, s3
	v_dual_sub_f32 v27, v16, v14 :: v_dual_sub_f32 v28, v17, v15
	s_mov_b32 s36, exec_lo
	v_cmpx_lt_i32_e64 v12, v29
	s_cbranch_execz .LBB42_25
; %bb.18:                               ;   in Loop: Header=BB42_9 Depth=2
	v_ashrrev_i32_e32 v13, 31, v12
	s_mov_b32 s38, 0
                                        ; implicit-def: $sgpr37
                                        ; implicit-def: $sgpr40
                                        ; implicit-def: $sgpr39
	s_delay_alu instid0(VALU_DEP_1) | instskip(NEXT) | instid1(VALU_DEP_1)
	v_lshlrev_b64 v[14:15], 2, v[12:13]
	v_add_co_u32 v14, vcc_lo, s6, v14
	s_delay_alu instid0(VALU_DEP_2)
	v_add_co_ci_u32_e32 v15, vcc_lo, s7, v15, vcc_lo
	s_set_inst_prefetch_distance 0x1
	s_branch .LBB42_20
	.p2align	6
.LBB42_19:                              ;   in Loop: Header=BB42_20 Depth=3
	s_or_b32 exec_lo, exec_lo, s41
	s_delay_alu instid0(SALU_CYCLE_1) | instskip(NEXT) | instid1(SALU_CYCLE_1)
	s_and_b32 s3, exec_lo, s40
	s_or_b32 s38, s3, s38
	s_and_not1_b32 s3, s37, exec_lo
	s_and_b32 s37, s39, exec_lo
	s_delay_alu instid0(SALU_CYCLE_1)
	s_or_b32 s37, s3, s37
	s_and_not1_b32 exec_lo, exec_lo, s38
	s_cbranch_execz .LBB42_22
.LBB42_20:                              ;   Parent Loop BB42_5 Depth=1
                                        ;     Parent Loop BB42_9 Depth=2
                                        ; =>    This Inner Loop Header: Depth=3
	global_load_b32 v11, v[14:15], off
	v_dual_mov_b32 v17, v13 :: v_dual_mov_b32 v16, v12
	s_or_b32 s39, s39, exec_lo
	s_or_b32 s40, s40, exec_lo
	s_mov_b32 s41, exec_lo
                                        ; implicit-def: $vgpr12_vgpr13
	s_waitcnt vmcnt(0)
	v_subrev_nc_u32_e32 v11, s30, v11
	s_delay_alu instid0(VALU_DEP_1)
	v_cmpx_ne_u32_e64 v11, v1
	s_cbranch_execz .LBB42_19
; %bb.21:                               ;   in Loop: Header=BB42_20 Depth=3
	v_add_co_u32 v12, vcc_lo, v16, 1
	v_add_co_ci_u32_e32 v13, vcc_lo, 0, v17, vcc_lo
	v_add_co_u32 v14, s3, v14, 4
	s_delay_alu instid0(VALU_DEP_3) | instskip(SKIP_4) | instid1(SALU_CYCLE_1)
	v_cmp_ge_i32_e32 vcc_lo, v12, v29
	v_add_co_ci_u32_e64 v15, s3, 0, v15, s3
	s_and_not1_b32 s3, s40, exec_lo
	s_and_not1_b32 s39, s39, exec_lo
	s_and_b32 s40, vcc_lo, exec_lo
	s_or_b32 s40, s3, s40
	s_branch .LBB42_19
.LBB42_22:                              ;   in Loop: Header=BB42_9 Depth=2
	s_set_inst_prefetch_distance 0x2
	s_or_b32 exec_lo, exec_lo, s38
	s_and_saveexec_b32 s3, s37
	s_delay_alu instid0(SALU_CYCLE_1)
	s_xor_b32 s3, exec_lo, s3
	s_cbranch_execz .LBB42_24
; %bb.23:                               ;   in Loop: Header=BB42_9 Depth=2
	v_lshlrev_b64 v[11:12], 2, v[16:17]
	s_delay_alu instid0(VALU_DEP_1) | instskip(NEXT) | instid1(VALU_DEP_2)
	v_add_co_u32 v11, vcc_lo, s8, v11
	v_add_co_ci_u32_e32 v12, vcc_lo, s9, v12, vcc_lo
	global_load_b32 v11, v[11:12], off
	s_waitcnt vmcnt(0)
	v_ashrrev_i32_e32 v12, 31, v11
	s_delay_alu instid0(VALU_DEP_1) | instskip(NEXT) | instid1(VALU_DEP_1)
	v_lshlrev_b64 v[11:12], 3, v[11:12]
	v_add_co_u32 v11, vcc_lo, s10, v11
	s_delay_alu instid0(VALU_DEP_2)
	v_add_co_ci_u32_e32 v12, vcc_lo, s11, v12, vcc_lo
	global_load_b64 v[11:12], v[11:12], off
	s_waitcnt vmcnt(0)
	v_dual_add_f32 v27, v27, v11 :: v_dual_add_f32 v28, v28, v12
.LBB42_24:                              ;   in Loop: Header=BB42_9 Depth=2
	s_or_b32 exec_lo, exec_lo, s3
.LBB42_25:                              ;   in Loop: Header=BB42_9 Depth=2
	s_delay_alu instid0(SALU_CYCLE_1) | instskip(NEXT) | instid1(SALU_CYCLE_1)
	s_or_b32 exec_lo, exec_lo, s36
	s_mov_b32 s36, exec_lo
	v_cmpx_lt_i32_e64 v10, v24
	s_cbranch_execz .LBB42_33
; %bb.26:                               ;   in Loop: Header=BB42_9 Depth=2
	v_ashrrev_i32_e32 v11, 31, v10
	s_mov_b32 s38, 0
                                        ; implicit-def: $sgpr37
                                        ; implicit-def: $sgpr40
                                        ; implicit-def: $sgpr39
	s_delay_alu instid0(VALU_DEP_1) | instskip(NEXT) | instid1(VALU_DEP_1)
	v_lshlrev_b64 v[12:13], 2, v[10:11]
	v_add_co_u32 v12, vcc_lo, s16, v12
	s_delay_alu instid0(VALU_DEP_2)
	v_add_co_ci_u32_e32 v13, vcc_lo, s17, v13, vcc_lo
	s_set_inst_prefetch_distance 0x1
	s_branch .LBB42_28
	.p2align	6
.LBB42_27:                              ;   in Loop: Header=BB42_28 Depth=3
	s_or_b32 exec_lo, exec_lo, s41
	s_delay_alu instid0(SALU_CYCLE_1) | instskip(NEXT) | instid1(SALU_CYCLE_1)
	s_and_b32 s3, exec_lo, s40
	s_or_b32 s38, s3, s38
	s_and_not1_b32 s3, s37, exec_lo
	s_and_b32 s37, s39, exec_lo
	s_delay_alu instid0(SALU_CYCLE_1)
	s_or_b32 s37, s3, s37
	s_and_not1_b32 exec_lo, exec_lo, s38
	s_cbranch_execz .LBB42_30
.LBB42_28:                              ;   Parent Loop BB42_5 Depth=1
                                        ;     Parent Loop BB42_9 Depth=2
                                        ; =>    This Inner Loop Header: Depth=3
	global_load_b32 v16, v[12:13], off
	v_dual_mov_b32 v15, v11 :: v_dual_mov_b32 v14, v10
	s_or_b32 s39, s39, exec_lo
	s_or_b32 s40, s40, exec_lo
	s_mov_b32 s41, exec_lo
                                        ; implicit-def: $vgpr10_vgpr11
	s_waitcnt vmcnt(0)
	v_cmpx_ne_u32_e64 v16, v26
	s_cbranch_execz .LBB42_27
; %bb.29:                               ;   in Loop: Header=BB42_28 Depth=3
	v_add_co_u32 v10, vcc_lo, v14, 1
	v_add_co_ci_u32_e32 v11, vcc_lo, 0, v15, vcc_lo
	v_add_co_u32 v12, s3, v12, 4
	s_delay_alu instid0(VALU_DEP_3) | instskip(SKIP_4) | instid1(SALU_CYCLE_1)
	v_cmp_ge_i32_e32 vcc_lo, v10, v24
	v_add_co_ci_u32_e64 v13, s3, 0, v13, s3
	s_and_not1_b32 s3, s40, exec_lo
	s_and_not1_b32 s39, s39, exec_lo
	s_and_b32 s40, vcc_lo, exec_lo
	s_or_b32 s40, s3, s40
	s_branch .LBB42_27
.LBB42_30:                              ;   in Loop: Header=BB42_9 Depth=2
	s_set_inst_prefetch_distance 0x2
	s_or_b32 exec_lo, exec_lo, s38
	s_and_saveexec_b32 s3, s37
	s_delay_alu instid0(SALU_CYCLE_1)
	s_xor_b32 s3, exec_lo, s3
	s_cbranch_execz .LBB42_32
; %bb.31:                               ;   in Loop: Header=BB42_9 Depth=2
	v_lshlrev_b64 v[10:11], 3, v[14:15]
	s_delay_alu instid0(VALU_DEP_1) | instskip(NEXT) | instid1(VALU_DEP_2)
	v_add_co_u32 v10, vcc_lo, s10, v10
	v_add_co_ci_u32_e32 v11, vcc_lo, s11, v11, vcc_lo
	global_load_b64 v[10:11], v[10:11], off
	s_waitcnt vmcnt(0)
	v_fmac_f32_e32 v27, v10, v8
	v_fmac_f32_e32 v28, v11, v8
	s_delay_alu instid0(VALU_DEP_2) | instskip(NEXT) | instid1(VALU_DEP_2)
	v_fma_f32 v27, -v11, v9, v27
	v_fmac_f32_e32 v28, v10, v9
.LBB42_32:                              ;   in Loop: Header=BB42_9 Depth=2
	s_or_b32 exec_lo, exec_lo, s3
.LBB42_33:                              ;   in Loop: Header=BB42_9 Depth=2
	s_delay_alu instid0(SALU_CYCLE_1) | instskip(SKIP_1) | instid1(VALU_DEP_1)
	s_or_b32 exec_lo, exec_lo, s36
	s_waitcnt vmcnt(0)
	v_dual_add_f32 v8, v8, v27 :: v_dual_add_f32 v9, v9, v28
	v_cmp_eq_u32_e32 vcc_lo, v1, v7
	s_mov_b32 s3, exec_lo
	s_delay_alu instid0(VALU_DEP_2) | instskip(NEXT) | instid1(VALU_DEP_1)
	v_dual_cndmask_b32 v10, v28, v9 :: v_dual_cndmask_b32 v7, v27, v8
	v_cmp_gt_f32_e32 vcc_lo, 0, v7
	v_cndmask_b32_e64 v8, v7, -v7, vcc_lo
	s_delay_alu instid0(VALU_DEP_3) | instskip(SKIP_1) | instid1(VALU_DEP_1)
	v_cmp_gt_f32_e32 vcc_lo, 0, v10
                                        ; implicit-def: $vgpr7
	v_cndmask_b32_e64 v9, v10, -v10, vcc_lo
	v_cmpx_ngt_f32_e32 v8, v9
	s_xor_b32 s36, exec_lo, s3
	s_cbranch_execz .LBB42_37
; %bb.34:                               ;   in Loop: Header=BB42_9 Depth=2
	v_mov_b32_e32 v7, 0
	s_mov_b32 s37, exec_lo
	v_cmpx_neq_f32_e32 0, v10
	s_cbranch_execz .LBB42_36
; %bb.35:                               ;   in Loop: Header=BB42_9 Depth=2
	v_div_scale_f32 v7, null, v9, v9, v8
	v_div_scale_f32 v12, vcc_lo, v8, v9, v8
	s_delay_alu instid0(VALU_DEP_2) | instskip(SKIP_2) | instid1(VALU_DEP_1)
	v_rcp_f32_e32 v10, v7
	s_waitcnt_depctr 0xfff
	v_fma_f32 v11, -v7, v10, 1.0
	v_fmac_f32_e32 v10, v11, v10
	s_delay_alu instid0(VALU_DEP_1) | instskip(NEXT) | instid1(VALU_DEP_1)
	v_mul_f32_e32 v11, v12, v10
	v_fma_f32 v13, -v7, v11, v12
	s_delay_alu instid0(VALU_DEP_1) | instskip(NEXT) | instid1(VALU_DEP_1)
	v_fmac_f32_e32 v11, v13, v10
	v_fma_f32 v7, -v7, v11, v12
	s_delay_alu instid0(VALU_DEP_1) | instskip(NEXT) | instid1(VALU_DEP_1)
	v_div_fmas_f32 v7, v7, v10, v11
	v_div_fixup_f32 v7, v7, v9, v8
	s_delay_alu instid0(VALU_DEP_1) | instskip(NEXT) | instid1(VALU_DEP_1)
	v_fma_f32 v7, v7, v7, 1.0
	v_mul_f32_e32 v8, 0x4f800000, v7
	v_cmp_gt_f32_e32 vcc_lo, 0xf800000, v7
	s_delay_alu instid0(VALU_DEP_2) | instskip(NEXT) | instid1(VALU_DEP_1)
	v_cndmask_b32_e32 v7, v7, v8, vcc_lo
	v_sqrt_f32_e32 v8, v7
	s_waitcnt_depctr 0xfff
	v_add_nc_u32_e32 v10, -1, v8
	v_add_nc_u32_e32 v11, 1, v8
	s_delay_alu instid0(VALU_DEP_2) | instskip(NEXT) | instid1(VALU_DEP_2)
	v_fma_f32 v12, -v10, v8, v7
	v_fma_f32 v13, -v11, v8, v7
	s_delay_alu instid0(VALU_DEP_2) | instskip(NEXT) | instid1(VALU_DEP_1)
	v_cmp_ge_f32_e64 s3, 0, v12
	v_cndmask_b32_e64 v8, v8, v10, s3
	s_delay_alu instid0(VALU_DEP_3) | instskip(NEXT) | instid1(VALU_DEP_1)
	v_cmp_lt_f32_e64 s3, 0, v13
	v_cndmask_b32_e64 v8, v8, v11, s3
	s_delay_alu instid0(VALU_DEP_1) | instskip(NEXT) | instid1(VALU_DEP_1)
	v_mul_f32_e32 v10, 0x37800000, v8
	v_cndmask_b32_e32 v8, v8, v10, vcc_lo
	v_cmp_class_f32_e64 vcc_lo, v7, 0x260
	s_delay_alu instid0(VALU_DEP_2) | instskip(NEXT) | instid1(VALU_DEP_1)
	v_cndmask_b32_e32 v7, v8, v7, vcc_lo
	v_mul_f32_e32 v7, v9, v7
.LBB42_36:                              ;   in Loop: Header=BB42_9 Depth=2
	s_or_b32 exec_lo, exec_lo, s37
                                        ; implicit-def: $vgpr8
                                        ; implicit-def: $vgpr9
.LBB42_37:                              ;   in Loop: Header=BB42_9 Depth=2
	s_and_not1_saveexec_b32 s36, s36
	s_cbranch_execz .LBB42_39
; %bb.38:                               ;   in Loop: Header=BB42_9 Depth=2
	v_div_scale_f32 v7, null, v8, v8, v9
	v_div_scale_f32 v12, vcc_lo, v9, v8, v9
	s_delay_alu instid0(VALU_DEP_2) | instskip(SKIP_2) | instid1(VALU_DEP_1)
	v_rcp_f32_e32 v10, v7
	s_waitcnt_depctr 0xfff
	v_fma_f32 v11, -v7, v10, 1.0
	v_fmac_f32_e32 v10, v11, v10
	s_delay_alu instid0(VALU_DEP_1) | instskip(NEXT) | instid1(VALU_DEP_1)
	v_mul_f32_e32 v11, v12, v10
	v_fma_f32 v13, -v7, v11, v12
	s_delay_alu instid0(VALU_DEP_1) | instskip(NEXT) | instid1(VALU_DEP_1)
	v_fmac_f32_e32 v11, v13, v10
	v_fma_f32 v7, -v7, v11, v12
	s_delay_alu instid0(VALU_DEP_1) | instskip(NEXT) | instid1(VALU_DEP_1)
	v_div_fmas_f32 v7, v7, v10, v11
	v_div_fixup_f32 v7, v7, v8, v9
	s_delay_alu instid0(VALU_DEP_1) | instskip(NEXT) | instid1(VALU_DEP_1)
	v_fma_f32 v7, v7, v7, 1.0
	v_mul_f32_e32 v9, 0x4f800000, v7
	v_cmp_gt_f32_e32 vcc_lo, 0xf800000, v7
	s_delay_alu instid0(VALU_DEP_2) | instskip(NEXT) | instid1(VALU_DEP_1)
	v_cndmask_b32_e32 v7, v7, v9, vcc_lo
	v_sqrt_f32_e32 v9, v7
	s_waitcnt_depctr 0xfff
	v_add_nc_u32_e32 v10, -1, v9
	v_add_nc_u32_e32 v11, 1, v9
	s_delay_alu instid0(VALU_DEP_2) | instskip(NEXT) | instid1(VALU_DEP_2)
	v_fma_f32 v12, -v10, v9, v7
	v_fma_f32 v13, -v11, v9, v7
	s_delay_alu instid0(VALU_DEP_2) | instskip(NEXT) | instid1(VALU_DEP_1)
	v_cmp_ge_f32_e64 s3, 0, v12
	v_cndmask_b32_e64 v9, v9, v10, s3
	s_delay_alu instid0(VALU_DEP_3) | instskip(NEXT) | instid1(VALU_DEP_1)
	v_cmp_lt_f32_e64 s3, 0, v13
	v_cndmask_b32_e64 v9, v9, v11, s3
	s_delay_alu instid0(VALU_DEP_1) | instskip(NEXT) | instid1(VALU_DEP_1)
	v_mul_f32_e32 v10, 0x37800000, v9
	v_cndmask_b32_e32 v9, v9, v10, vcc_lo
	v_cmp_class_f32_e64 vcc_lo, v7, 0x260
	s_delay_alu instid0(VALU_DEP_2) | instskip(NEXT) | instid1(VALU_DEP_1)
	v_cndmask_b32_e32 v7, v9, v7, vcc_lo
	v_mul_f32_e32 v7, v8, v7
.LBB42_39:                              ;   in Loop: Header=BB42_9 Depth=2
	s_or_b32 exec_lo, exec_lo, s36
	v_cmp_gt_f32_e32 vcc_lo, 0, v5
                                        ; implicit-def: $vgpr10
	s_mov_b32 s3, exec_lo
	v_cndmask_b32_e64 v8, v5, -v5, vcc_lo
	v_cmp_gt_f32_e32 vcc_lo, 0, v6
	v_cndmask_b32_e64 v9, v6, -v6, vcc_lo
	s_delay_alu instid0(VALU_DEP_1)
	v_cmpx_ngt_f32_e32 v8, v9
	s_xor_b32 s36, exec_lo, s3
	s_cbranch_execnz .LBB42_42
; %bb.40:                               ;   in Loop: Header=BB42_9 Depth=2
	s_and_not1_saveexec_b32 s36, s36
	s_cbranch_execnz .LBB42_45
.LBB42_41:                              ;   in Loop: Header=BB42_9 Depth=2
	s_or_b32 exec_lo, exec_lo, s36
	v_cmp_class_f32_e64 s36, v10, 0x1f8
	s_delay_alu instid0(VALU_DEP_1)
	s_and_saveexec_b32 s3, s36
	s_cbranch_execz .LBB42_8
	s_branch .LBB42_46
.LBB42_42:                              ;   in Loop: Header=BB42_9 Depth=2
	v_mov_b32_e32 v10, 0
	s_mov_b32 s37, exec_lo
	v_cmpx_neq_f32_e32 0, v6
	s_cbranch_execz .LBB42_44
; %bb.43:                               ;   in Loop: Header=BB42_9 Depth=2
	v_div_scale_f32 v10, null, v9, v9, v8
	v_div_scale_f32 v13, vcc_lo, v8, v9, v8
	s_delay_alu instid0(VALU_DEP_2) | instskip(SKIP_2) | instid1(VALU_DEP_1)
	v_rcp_f32_e32 v11, v10
	s_waitcnt_depctr 0xfff
	v_fma_f32 v12, -v10, v11, 1.0
	v_fmac_f32_e32 v11, v12, v11
	s_delay_alu instid0(VALU_DEP_1) | instskip(NEXT) | instid1(VALU_DEP_1)
	v_mul_f32_e32 v12, v13, v11
	v_fma_f32 v14, -v10, v12, v13
	s_delay_alu instid0(VALU_DEP_1) | instskip(NEXT) | instid1(VALU_DEP_1)
	v_fmac_f32_e32 v12, v14, v11
	v_fma_f32 v10, -v10, v12, v13
	s_delay_alu instid0(VALU_DEP_1) | instskip(NEXT) | instid1(VALU_DEP_1)
	v_div_fmas_f32 v10, v10, v11, v12
	v_div_fixup_f32 v8, v10, v9, v8
	s_delay_alu instid0(VALU_DEP_1) | instskip(NEXT) | instid1(VALU_DEP_1)
	v_fma_f32 v8, v8, v8, 1.0
	v_mul_f32_e32 v10, 0x4f800000, v8
	v_cmp_gt_f32_e32 vcc_lo, 0xf800000, v8
	s_delay_alu instid0(VALU_DEP_2) | instskip(NEXT) | instid1(VALU_DEP_1)
	v_cndmask_b32_e32 v8, v8, v10, vcc_lo
	v_sqrt_f32_e32 v10, v8
	s_waitcnt_depctr 0xfff
	v_add_nc_u32_e32 v11, -1, v10
	v_add_nc_u32_e32 v12, 1, v10
	s_delay_alu instid0(VALU_DEP_2) | instskip(NEXT) | instid1(VALU_DEP_2)
	v_fma_f32 v13, -v11, v10, v8
	v_fma_f32 v14, -v12, v10, v8
	s_delay_alu instid0(VALU_DEP_2) | instskip(NEXT) | instid1(VALU_DEP_1)
	v_cmp_ge_f32_e64 s3, 0, v13
	v_cndmask_b32_e64 v10, v10, v11, s3
	s_delay_alu instid0(VALU_DEP_3) | instskip(NEXT) | instid1(VALU_DEP_1)
	v_cmp_lt_f32_e64 s3, 0, v14
	v_cndmask_b32_e64 v10, v10, v12, s3
	s_delay_alu instid0(VALU_DEP_1) | instskip(NEXT) | instid1(VALU_DEP_1)
	v_mul_f32_e32 v11, 0x37800000, v10
	v_cndmask_b32_e32 v10, v10, v11, vcc_lo
	v_cmp_class_f32_e64 vcc_lo, v8, 0x260
	s_delay_alu instid0(VALU_DEP_2) | instskip(NEXT) | instid1(VALU_DEP_1)
	v_cndmask_b32_e32 v8, v10, v8, vcc_lo
	v_mul_f32_e32 v10, v9, v8
.LBB42_44:                              ;   in Loop: Header=BB42_9 Depth=2
	s_or_b32 exec_lo, exec_lo, s37
                                        ; implicit-def: $vgpr8
                                        ; implicit-def: $vgpr9
	s_and_not1_saveexec_b32 s36, s36
	s_cbranch_execz .LBB42_41
.LBB42_45:                              ;   in Loop: Header=BB42_9 Depth=2
	v_div_scale_f32 v10, null, v8, v8, v9
	v_div_scale_f32 v13, vcc_lo, v9, v8, v9
	s_delay_alu instid0(VALU_DEP_2) | instskip(SKIP_2) | instid1(VALU_DEP_1)
	v_rcp_f32_e32 v11, v10
	s_waitcnt_depctr 0xfff
	v_fma_f32 v12, -v10, v11, 1.0
	v_fmac_f32_e32 v11, v12, v11
	s_delay_alu instid0(VALU_DEP_1) | instskip(NEXT) | instid1(VALU_DEP_1)
	v_mul_f32_e32 v12, v13, v11
	v_fma_f32 v14, -v10, v12, v13
	s_delay_alu instid0(VALU_DEP_1) | instskip(NEXT) | instid1(VALU_DEP_1)
	v_fmac_f32_e32 v12, v14, v11
	v_fma_f32 v10, -v10, v12, v13
	s_delay_alu instid0(VALU_DEP_1) | instskip(NEXT) | instid1(VALU_DEP_1)
	v_div_fmas_f32 v10, v10, v11, v12
	v_div_fixup_f32 v9, v10, v8, v9
	s_delay_alu instid0(VALU_DEP_1) | instskip(NEXT) | instid1(VALU_DEP_1)
	v_fma_f32 v9, v9, v9, 1.0
	v_mul_f32_e32 v10, 0x4f800000, v9
	v_cmp_gt_f32_e32 vcc_lo, 0xf800000, v9
	s_delay_alu instid0(VALU_DEP_2) | instskip(NEXT) | instid1(VALU_DEP_1)
	v_cndmask_b32_e32 v9, v9, v10, vcc_lo
	v_sqrt_f32_e32 v10, v9
	s_waitcnt_depctr 0xfff
	v_add_nc_u32_e32 v11, -1, v10
	v_add_nc_u32_e32 v12, 1, v10
	s_delay_alu instid0(VALU_DEP_2) | instskip(NEXT) | instid1(VALU_DEP_2)
	v_fma_f32 v13, -v11, v10, v9
	v_fma_f32 v14, -v12, v10, v9
	s_delay_alu instid0(VALU_DEP_2) | instskip(NEXT) | instid1(VALU_DEP_1)
	v_cmp_ge_f32_e64 s3, 0, v13
	v_cndmask_b32_e64 v10, v10, v11, s3
	s_delay_alu instid0(VALU_DEP_3) | instskip(NEXT) | instid1(VALU_DEP_1)
	v_cmp_lt_f32_e64 s3, 0, v14
	v_cndmask_b32_e64 v10, v10, v12, s3
	s_delay_alu instid0(VALU_DEP_1) | instskip(NEXT) | instid1(VALU_DEP_1)
	v_mul_f32_e32 v11, 0x37800000, v10
	v_cndmask_b32_e32 v10, v10, v11, vcc_lo
	v_cmp_class_f32_e64 vcc_lo, v9, 0x260
	s_delay_alu instid0(VALU_DEP_2) | instskip(NEXT) | instid1(VALU_DEP_1)
	v_cndmask_b32_e32 v9, v10, v9, vcc_lo
	v_mul_f32_e32 v10, v8, v9
	s_or_b32 exec_lo, exec_lo, s36
	s_delay_alu instid0(VALU_DEP_1) | instskip(NEXT) | instid1(VALU_DEP_1)
	v_cmp_class_f32_e64 s36, v10, 0x1f8
	s_and_saveexec_b32 s3, s36
	s_cbranch_execz .LBB42_8
.LBB42_46:                              ;   in Loop: Header=BB42_9 Depth=2
	v_add_co_u32 v3, vcc_lo, s10, v3
	v_add_co_ci_u32_e32 v4, vcc_lo, s11, v4, vcc_lo
	global_store_b64 v[3:4], v[5:6], off
	s_branch .LBB42_8
.LBB42_47:
	s_or_b32 exec_lo, exec_lo, s29
	v_mbcnt_lo_u32_b32 v1, -1, 0
	s_mov_b32 s2, exec_lo
	s_delay_alu instid0(VALU_DEP_1) | instskip(SKIP_2) | instid1(VALU_DEP_3)
	v_xor_b32_e32 v2, 8, v1
	v_xor_b32_e32 v3, 4, v1
	v_xor_b32_e32 v4, 2, v1
	v_cmp_gt_i32_e32 vcc_lo, 32, v2
	v_cndmask_b32_e32 v2, v1, v2, vcc_lo
	s_delay_alu instid0(VALU_DEP_4) | instskip(SKIP_1) | instid1(VALU_DEP_1)
	v_cmp_gt_i32_e32 vcc_lo, 32, v3
	v_cndmask_b32_e32 v3, v1, v3, vcc_lo
	v_lshlrev_b32_e32 v3, 2, v3
	s_delay_alu instid0(VALU_DEP_4)
	v_lshlrev_b32_e32 v2, 2, v2
	ds_bpermute_b32 v2, v2, v21
	s_waitcnt lgkmcnt(0)
	v_cmp_lt_f32_e32 vcc_lo, v21, v2
	v_cndmask_b32_e32 v2, v21, v2, vcc_lo
	v_cmp_gt_i32_e32 vcc_lo, 32, v4
	ds_bpermute_b32 v3, v3, v2
	v_cndmask_b32_e32 v4, v1, v4, vcc_lo
	s_delay_alu instid0(VALU_DEP_1)
	v_lshlrev_b32_e32 v4, 2, v4
	s_waitcnt lgkmcnt(0)
	v_cmp_lt_f32_e32 vcc_lo, v2, v3
	v_cndmask_b32_e32 v2, v2, v3, vcc_lo
	ds_bpermute_b32 v3, v4, v2
	v_xor_b32_e32 v4, 1, v1
	s_delay_alu instid0(VALU_DEP_1) | instskip(SKIP_3) | instid1(VALU_DEP_2)
	v_cmp_gt_i32_e32 vcc_lo, 32, v4
	v_cndmask_b32_e32 v4, v1, v4, vcc_lo
	s_waitcnt lgkmcnt(0)
	v_cmp_lt_f32_e32 vcc_lo, v2, v3
	v_dual_cndmask_b32 v1, v2, v3 :: v_dual_lshlrev_b32 v2, 2, v4
	ds_bpermute_b32 v2, v2, v1
	v_cmpx_eq_u32_e32 15, v19
	s_cbranch_execz .LBB42_49
; %bb.48:
	s_waitcnt lgkmcnt(0)
	v_cmp_lt_f32_e32 vcc_lo, v1, v2
	v_lshlrev_b32_e32 v3, 2, v18
	v_cndmask_b32_e32 v1, v1, v2, vcc_lo
	ds_store_b32 v3, v1
.LBB42_49:
	s_or_b32 exec_lo, exec_lo, s2
	v_lshlrev_b32_e32 v1, 2, v0
	s_mov_b32 s2, exec_lo
	s_waitcnt lgkmcnt(0)
	s_waitcnt_vscnt null, 0x0
	s_barrier
	buffer_gl0_inv
	v_cmpx_gt_u32_e32 32, v0
	s_cbranch_execz .LBB42_51
; %bb.50:
	ds_load_2addr_b32 v[2:3], v1 offset1:32
	s_waitcnt lgkmcnt(0)
	v_cmp_lt_f32_e32 vcc_lo, v2, v3
	v_cndmask_b32_e32 v2, v2, v3, vcc_lo
	ds_store_b32 v1, v2
.LBB42_51:
	s_or_b32 exec_lo, exec_lo, s2
	s_delay_alu instid0(SALU_CYCLE_1)
	s_mov_b32 s2, exec_lo
	s_waitcnt lgkmcnt(0)
	s_barrier
	buffer_gl0_inv
	v_cmpx_gt_u32_e32 16, v0
	s_cbranch_execz .LBB42_53
; %bb.52:
	ds_load_2addr_b32 v[2:3], v1 offset1:16
	s_waitcnt lgkmcnt(0)
	v_cmp_lt_f32_e32 vcc_lo, v2, v3
	v_cndmask_b32_e32 v2, v2, v3, vcc_lo
	ds_store_b32 v1, v2
.LBB42_53:
	s_or_b32 exec_lo, exec_lo, s2
	s_delay_alu instid0(SALU_CYCLE_1)
	s_mov_b32 s2, exec_lo
	s_waitcnt lgkmcnt(0)
	;; [unrolled: 15-line block ×4, first 2 shown]
	s_barrier
	buffer_gl0_inv
	v_cmpx_gt_u32_e32 2, v0
	s_cbranch_execz .LBB42_59
; %bb.58:
	ds_load_2addr_b32 v[2:3], v1 offset1:2
	s_waitcnt lgkmcnt(0)
	v_cmp_lt_f32_e32 vcc_lo, v2, v3
	v_cndmask_b32_e32 v2, v2, v3, vcc_lo
	ds_store_b32 v1, v2
.LBB42_59:
	s_or_b32 exec_lo, exec_lo, s2
	v_cmp_eq_u32_e32 vcc_lo, 0, v0
	s_waitcnt lgkmcnt(0)
	s_barrier
	buffer_gl0_inv
	s_and_saveexec_b32 s3, vcc_lo
	s_cbranch_execz .LBB42_61
; %bb.60:
	v_mov_b32_e32 v2, 0
	ds_load_b64 v[0:1], v2
	s_waitcnt lgkmcnt(0)
	v_cmp_lt_f32_e64 s2, v0, v1
	s_delay_alu instid0(VALU_DEP_1)
	v_cndmask_b32_e64 v0, v0, v1, s2
	ds_store_b32 v2, v0
.LBB42_61:
	s_or_b32 exec_lo, exec_lo, s3
	s_waitcnt lgkmcnt(0)
	s_barrier
	buffer_gl0_inv
	s_and_saveexec_b32 s2, vcc_lo
	s_cbranch_execz .LBB42_66
; %bb.62:
	s_load_b128 s[4:7], s[0:1], 0x70
	v_mov_b32_e32 v2, 0
	s_mov_b32 s1, 0
                                        ; implicit-def: $sgpr2
                                        ; implicit-def: $sgpr3
	ds_load_b32 v0, v2
	s_waitcnt lgkmcnt(0)
	s_load_b32 s0, s[6:7], 0x0
	s_waitcnt lgkmcnt(0)
	v_div_scale_f32 v3, null, s0, s0, v0
	v_div_scale_f32 v6, vcc_lo, v0, s0, v0
	s_delay_alu instid0(VALU_DEP_2) | instskip(SKIP_2) | instid1(VALU_DEP_1)
	v_rcp_f32_e32 v4, v3
	s_waitcnt_depctr 0xfff
	v_fma_f32 v5, -v3, v4, 1.0
	v_fmac_f32_e32 v4, v5, v4
	s_delay_alu instid0(VALU_DEP_1) | instskip(SKIP_2) | instid1(VALU_DEP_1)
	v_mul_f32_e32 v5, v6, v4
	global_load_b32 v1, v2, s[4:5] glc
	v_fma_f32 v7, -v3, v5, v6
	v_fmac_f32_e32 v5, v7, v4
	s_delay_alu instid0(VALU_DEP_1) | instskip(NEXT) | instid1(VALU_DEP_1)
	v_fma_f32 v3, -v3, v5, v6
	v_div_fmas_f32 v3, v3, v4, v5
	s_delay_alu instid0(VALU_DEP_1) | instskip(NEXT) | instid1(VALU_DEP_1)
	v_div_fixup_f32 v0, v3, s0, v0
	v_cmp_eq_f32_e32 vcc_lo, 0, v0
	s_waitcnt vmcnt(0)
	v_cmp_eq_u32_e64 s6, 0x80000000, v1
	s_set_inst_prefetch_distance 0x1
	s_branch .LBB42_64
	.p2align	6
.LBB42_63:                              ;   in Loop: Header=BB42_64 Depth=1
	s_or_b32 exec_lo, exec_lo, s7
	s_delay_alu instid0(SALU_CYCLE_1) | instskip(NEXT) | instid1(SALU_CYCLE_1)
	s_and_b32 s0, exec_lo, s2
	s_or_b32 s1, s0, s1
	s_and_not1_b32 s0, s6, exec_lo
	s_and_b32 s6, s3, exec_lo
	s_delay_alu instid0(SALU_CYCLE_1)
	s_or_b32 s6, s0, s6
	s_and_not1_b32 exec_lo, exec_lo, s1
	s_cbranch_execz .LBB42_66
.LBB42_64:                              ; =>This Inner Loop Header: Depth=1
	v_cmp_lt_f32_e64 s0, v1, v0
	s_delay_alu instid0(VALU_DEP_2) | instskip(SKIP_2) | instid1(VALU_DEP_1)
	s_and_b32 s7, vcc_lo, s6
	s_and_not1_b32 s3, s3, exec_lo
	s_or_b32 s2, s2, exec_lo
	s_or_b32 s0, s0, s7
	s_delay_alu instid0(SALU_CYCLE_1)
	s_and_saveexec_b32 s7, s0
	s_cbranch_execz .LBB42_63
; %bb.65:                               ;   in Loop: Header=BB42_64 Depth=1
	global_atomic_cmpswap_b32 v3, v2, v[0:1], s[4:5] glc
	s_and_not1_b32 s3, s3, exec_lo
	s_and_not1_b32 s2, s2, exec_lo
	s_waitcnt vmcnt(0)
	v_cmp_eq_u32_e64 s0, v3, v1
	s_delay_alu instid0(VALU_DEP_1) | instskip(SKIP_1) | instid1(SALU_CYCLE_1)
	v_cndmask_b32_e64 v1, v3, v1, s0
	s_and_b32 s0, s0, exec_lo
	s_or_b32 s2, s2, s0
	s_delay_alu instid0(VALU_DEP_1) | instskip(SKIP_1) | instid1(VALU_DEP_2)
	v_cmp_class_f32_e64 s6, v1, 32
	v_mov_b32_e32 v1, v3
	s_and_b32 s6, s6, exec_lo
	s_delay_alu instid0(SALU_CYCLE_1)
	s_or_b32 s3, s3, s6
                                        ; implicit-def: $sgpr6
	s_branch .LBB42_63
.LBB42_66:
	s_set_inst_prefetch_distance 0x2
	s_endpgm
	.section	.rodata,"a",@progbits
	.p2align	6, 0x0
	.amdhsa_kernel _ZN9rocsparseL16kernel_calculateILi1024ELi16ELb1E21rocsparse_complex_numIfEiiEEvT4_T3_PKS4_S6_PKS3_PKT2_21rocsparse_index_base_S6_S6_S8_S6_S6_S8_S6_PS9_PNS_15floating_traitsIS9_E6data_tEPKSG_
		.amdhsa_group_segment_fixed_size 256
		.amdhsa_private_segment_fixed_size 0
		.amdhsa_kernarg_size 128
		.amdhsa_user_sgpr_count 15
		.amdhsa_user_sgpr_dispatch_ptr 0
		.amdhsa_user_sgpr_queue_ptr 0
		.amdhsa_user_sgpr_kernarg_segment_ptr 1
		.amdhsa_user_sgpr_dispatch_id 0
		.amdhsa_user_sgpr_private_segment_size 0
		.amdhsa_wavefront_size32 1
		.amdhsa_uses_dynamic_stack 0
		.amdhsa_enable_private_segment 0
		.amdhsa_system_sgpr_workgroup_id_x 1
		.amdhsa_system_sgpr_workgroup_id_y 0
		.amdhsa_system_sgpr_workgroup_id_z 0
		.amdhsa_system_sgpr_workgroup_info 0
		.amdhsa_system_vgpr_workitem_id 0
		.amdhsa_next_free_vgpr 32
		.amdhsa_next_free_sgpr 42
		.amdhsa_reserve_vcc 1
		.amdhsa_float_round_mode_32 0
		.amdhsa_float_round_mode_16_64 0
		.amdhsa_float_denorm_mode_32 3
		.amdhsa_float_denorm_mode_16_64 3
		.amdhsa_dx10_clamp 1
		.amdhsa_ieee_mode 1
		.amdhsa_fp16_overflow 0
		.amdhsa_workgroup_processor_mode 1
		.amdhsa_memory_ordered 1
		.amdhsa_forward_progress 0
		.amdhsa_shared_vgpr_count 0
		.amdhsa_exception_fp_ieee_invalid_op 0
		.amdhsa_exception_fp_denorm_src 0
		.amdhsa_exception_fp_ieee_div_zero 0
		.amdhsa_exception_fp_ieee_overflow 0
		.amdhsa_exception_fp_ieee_underflow 0
		.amdhsa_exception_fp_ieee_inexact 0
		.amdhsa_exception_int_div_zero 0
	.end_amdhsa_kernel
	.section	.text._ZN9rocsparseL16kernel_calculateILi1024ELi16ELb1E21rocsparse_complex_numIfEiiEEvT4_T3_PKS4_S6_PKS3_PKT2_21rocsparse_index_base_S6_S6_S8_S6_S6_S8_S6_PS9_PNS_15floating_traitsIS9_E6data_tEPKSG_,"axG",@progbits,_ZN9rocsparseL16kernel_calculateILi1024ELi16ELb1E21rocsparse_complex_numIfEiiEEvT4_T3_PKS4_S6_PKS3_PKT2_21rocsparse_index_base_S6_S6_S8_S6_S6_S8_S6_PS9_PNS_15floating_traitsIS9_E6data_tEPKSG_,comdat
.Lfunc_end42:
	.size	_ZN9rocsparseL16kernel_calculateILi1024ELi16ELb1E21rocsparse_complex_numIfEiiEEvT4_T3_PKS4_S6_PKS3_PKT2_21rocsparse_index_base_S6_S6_S8_S6_S6_S8_S6_PS9_PNS_15floating_traitsIS9_E6data_tEPKSG_, .Lfunc_end42-_ZN9rocsparseL16kernel_calculateILi1024ELi16ELb1E21rocsparse_complex_numIfEiiEEvT4_T3_PKS4_S6_PKS3_PKT2_21rocsparse_index_base_S6_S6_S8_S6_S6_S8_S6_PS9_PNS_15floating_traitsIS9_E6data_tEPKSG_
                                        ; -- End function
	.section	.AMDGPU.csdata,"",@progbits
; Kernel info:
; codeLenInByte = 3992
; NumSgprs: 44
; NumVgprs: 32
; ScratchSize: 0
; MemoryBound: 0
; FloatMode: 240
; IeeeMode: 1
; LDSByteSize: 256 bytes/workgroup (compile time only)
; SGPRBlocks: 5
; VGPRBlocks: 3
; NumSGPRsForWavesPerEU: 44
; NumVGPRsForWavesPerEU: 32
; Occupancy: 16
; WaveLimiterHint : 1
; COMPUTE_PGM_RSRC2:SCRATCH_EN: 0
; COMPUTE_PGM_RSRC2:USER_SGPR: 15
; COMPUTE_PGM_RSRC2:TRAP_HANDLER: 0
; COMPUTE_PGM_RSRC2:TGID_X_EN: 1
; COMPUTE_PGM_RSRC2:TGID_Y_EN: 0
; COMPUTE_PGM_RSRC2:TGID_Z_EN: 0
; COMPUTE_PGM_RSRC2:TIDIG_COMP_CNT: 0
	.section	.text._ZN9rocsparseL16kernel_calculateILi1024ELi32ELb1E21rocsparse_complex_numIfEiiEEvT4_T3_PKS4_S6_PKS3_PKT2_21rocsparse_index_base_S6_S6_S8_S6_S6_S8_S6_PS9_PNS_15floating_traitsIS9_E6data_tEPKSG_,"axG",@progbits,_ZN9rocsparseL16kernel_calculateILi1024ELi32ELb1E21rocsparse_complex_numIfEiiEEvT4_T3_PKS4_S6_PKS3_PKT2_21rocsparse_index_base_S6_S6_S8_S6_S6_S8_S6_PS9_PNS_15floating_traitsIS9_E6data_tEPKSG_,comdat
	.globl	_ZN9rocsparseL16kernel_calculateILi1024ELi32ELb1E21rocsparse_complex_numIfEiiEEvT4_T3_PKS4_S6_PKS3_PKT2_21rocsparse_index_base_S6_S6_S8_S6_S6_S8_S6_PS9_PNS_15floating_traitsIS9_E6data_tEPKSG_ ; -- Begin function _ZN9rocsparseL16kernel_calculateILi1024ELi32ELb1E21rocsparse_complex_numIfEiiEEvT4_T3_PKS4_S6_PKS3_PKT2_21rocsparse_index_base_S6_S6_S8_S6_S6_S8_S6_PS9_PNS_15floating_traitsIS9_E6data_tEPKSG_
	.p2align	8
	.type	_ZN9rocsparseL16kernel_calculateILi1024ELi32ELb1E21rocsparse_complex_numIfEiiEEvT4_T3_PKS4_S6_PKS3_PKT2_21rocsparse_index_base_S6_S6_S8_S6_S6_S8_S6_PS9_PNS_15floating_traitsIS9_E6data_tEPKSG_,@function
_ZN9rocsparseL16kernel_calculateILi1024ELi32ELb1E21rocsparse_complex_numIfEiiEEvT4_T3_PKS4_S6_PKS3_PKT2_21rocsparse_index_base_S6_S6_S8_S6_S6_S8_S6_PS9_PNS_15floating_traitsIS9_E6data_tEPKSG_: ; @_ZN9rocsparseL16kernel_calculateILi1024ELi32ELb1E21rocsparse_complex_numIfEiiEEvT4_T3_PKS4_S6_PKS3_PKT2_21rocsparse_index_base_S6_S6_S8_S6_S6_S8_S6_PS9_PNS_15floating_traitsIS9_E6data_tEPKSG_
; %bb.0:
	s_load_b32 s28, s[0:1], 0x0
	v_lshrrev_b32_e32 v18, 5, v0
	v_and_b32_e32 v19, 31, v0
	v_mov_b32_e32 v21, 0
	s_mov_b32 s29, exec_lo
	s_delay_alu instid0(VALU_DEP_3) | instskip(SKIP_1) | instid1(VALU_DEP_1)
	v_lshl_or_b32 v20, s15, 10, v18
	s_waitcnt lgkmcnt(0)
	v_cmpx_gt_i32_e64 s28, v20
	s_cbranch_execz .LBB43_47
; %bb.1:
	s_clause 0x3
	s_load_b32 s30, s[0:1], 0x28
	s_load_b256 s[4:11], s[0:1], 0x50
	s_load_b256 s[12:19], s[0:1], 0x30
	;; [unrolled: 1-line block ×3, first 2 shown]
	v_mov_b32_e32 v21, 0
	s_mov_b32 s31, 0
	s_waitcnt lgkmcnt(0)
	v_subrev_nc_u32_e32 v22, s30, v19
	s_branch .LBB43_5
.LBB43_2:                               ;   in Loop: Header=BB43_5 Depth=1
	s_or_b32 exec_lo, exec_lo, s35
.LBB43_3:                               ;   in Loop: Header=BB43_5 Depth=1
	s_delay_alu instid0(SALU_CYCLE_1)
	s_or_b32 exec_lo, exec_lo, s34
.LBB43_4:                               ;   in Loop: Header=BB43_5 Depth=1
	s_delay_alu instid0(SALU_CYCLE_1) | instskip(SKIP_1) | instid1(SALU_CYCLE_1)
	s_or_b32 exec_lo, exec_lo, s33
	s_add_i32 s31, s31, 1
	s_cmp_lg_u32 s31, 32
	s_cbranch_scc0 .LBB43_47
.LBB43_5:                               ; =>This Loop Header: Depth=1
                                        ;     Child Loop BB43_9 Depth 2
                                        ;       Child Loop BB43_12 Depth 3
                                        ;       Child Loop BB43_20 Depth 3
	;; [unrolled: 1-line block ×3, first 2 shown]
	v_lshl_add_u32 v1, s31, 5, v20
	s_mov_b32 s33, exec_lo
	s_delay_alu instid0(VALU_DEP_1)
	v_cmpx_gt_i32_e64 s28, v1
	s_cbranch_execz .LBB43_4
; %bb.6:                                ;   in Loop: Header=BB43_5 Depth=1
	v_ashrrev_i32_e32 v2, 31, v1
	s_mov_b32 s34, exec_lo
	s_delay_alu instid0(VALU_DEP_1) | instskip(NEXT) | instid1(VALU_DEP_1)
	v_lshlrev_b64 v[3:4], 2, v[1:2]
	v_add_co_u32 v5, vcc_lo, s22, v3
	s_delay_alu instid0(VALU_DEP_2)
	v_add_co_ci_u32_e32 v6, vcc_lo, s23, v4, vcc_lo
	v_add_co_u32 v7, vcc_lo, s20, v3
	v_add_co_ci_u32_e32 v8, vcc_lo, s21, v4, vcc_lo
	global_load_b32 v2, v[5:6], off
	global_load_b32 v5, v[7:8], off
	s_waitcnt vmcnt(1)
	v_subrev_nc_u32_e32 v23, s30, v2
	s_waitcnt vmcnt(0)
	v_add_nc_u32_e32 v2, v22, v5
	s_delay_alu instid0(VALU_DEP_1)
	v_cmpx_lt_i32_e64 v2, v23
	s_cbranch_execz .LBB43_3
; %bb.7:                                ;   in Loop: Header=BB43_5 Depth=1
	v_add_co_u32 v5, vcc_lo, s14, v3
	v_add_co_ci_u32_e32 v6, vcc_lo, s15, v4, vcc_lo
	v_add_co_u32 v3, vcc_lo, s12, v3
	v_add_co_ci_u32_e32 v4, vcc_lo, s13, v4, vcc_lo
	s_mov_b32 s35, 0
	global_load_b32 v5, v[5:6], off
	global_load_b32 v3, v[3:4], off
	s_waitcnt vmcnt(1)
	v_subrev_nc_u32_e32 v24, s30, v5
	s_waitcnt vmcnt(0)
	v_subrev_nc_u32_e32 v25, s30, v3
	v_cmp_lt_i32_e64 s2, v3, v5
	s_branch .LBB43_9
.LBB43_8:                               ;   in Loop: Header=BB43_9 Depth=2
	s_or_b32 exec_lo, exec_lo, s3
	v_cmp_nlg_f32_e64 s36, 0x7f800000, |v7|
	v_cmp_gt_f32_e32 vcc_lo, v21, v7
	s_delay_alu instid0(VALU_DEP_2) | instskip(SKIP_1) | instid1(VALU_DEP_1)
	s_or_b32 vcc_lo, s36, vcc_lo
	v_dual_cndmask_b32 v21, v7, v21 :: v_dual_add_nc_u32 v2, 32, v2
	v_cmp_ge_i32_e64 s3, v2, v23
	s_delay_alu instid0(VALU_DEP_1) | instskip(NEXT) | instid1(SALU_CYCLE_1)
	s_or_b32 s35, s3, s35
	s_and_not1_b32 exec_lo, exec_lo, s35
	s_cbranch_execz .LBB43_2
.LBB43_9:                               ;   Parent Loop BB43_5 Depth=1
                                        ; =>  This Loop Header: Depth=2
                                        ;       Child Loop BB43_12 Depth 3
                                        ;       Child Loop BB43_20 Depth 3
                                        ;       Child Loop BB43_28 Depth 3
	v_ashrrev_i32_e32 v3, 31, v2
	v_dual_mov_b32 v16, 0 :: v_dual_mov_b32 v17, 0
	s_delay_alu instid0(VALU_DEP_2) | instskip(NEXT) | instid1(VALU_DEP_1)
	v_lshlrev_b64 v[4:5], 2, v[2:3]
	v_add_co_u32 v4, vcc_lo, s24, v4
	s_delay_alu instid0(VALU_DEP_2) | instskip(SKIP_4) | instid1(VALU_DEP_1)
	v_add_co_ci_u32_e32 v5, vcc_lo, s25, v5, vcc_lo
	global_load_b32 v26, v[4:5], off
	v_lshlrev_b64 v[3:4], 3, v[2:3]
	s_waitcnt vmcnt(0)
	v_subrev_nc_u32_e32 v7, s30, v26
	v_ashrrev_i32_e32 v8, 31, v7
	s_delay_alu instid0(VALU_DEP_1) | instskip(NEXT) | instid1(VALU_DEP_1)
	v_lshlrev_b64 v[5:6], 2, v[7:8]
	v_add_co_u32 v8, vcc_lo, s14, v5
	s_delay_alu instid0(VALU_DEP_2)
	v_add_co_ci_u32_e32 v9, vcc_lo, s15, v6, vcc_lo
	v_add_co_u32 v10, vcc_lo, s4, v5
	v_add_co_ci_u32_e32 v11, vcc_lo, s5, v6, vcc_lo
	global_load_b32 v8, v[8:9], off
	v_add_co_u32 v5, vcc_lo, s18, v5
	v_add_co_ci_u32_e32 v6, vcc_lo, s19, v6, vcc_lo
	v_add_co_u32 v12, vcc_lo, s26, v3
	v_add_co_ci_u32_e32 v13, vcc_lo, s27, v4, vcc_lo
	global_load_b32 v10, v[10:11], off
	global_load_b32 v11, v[5:6], off
	s_waitcnt vmcnt(2)
	v_subrev_nc_u32_e32 v8, s30, v8
	s_delay_alu instid0(VALU_DEP_1) | instskip(SKIP_2) | instid1(VALU_DEP_2)
	v_ashrrev_i32_e32 v9, 31, v8
	s_waitcnt vmcnt(1)
	v_subrev_nc_u32_e32 v29, s30, v10
	v_lshlrev_b64 v[8:9], 3, v[8:9]
	s_delay_alu instid0(VALU_DEP_1) | instskip(NEXT) | instid1(VALU_DEP_2)
	v_add_co_u32 v5, vcc_lo, s10, v8
	v_add_co_ci_u32_e32 v6, vcc_lo, s11, v9, vcc_lo
	s_waitcnt vmcnt(0)
	v_cmp_lt_i32_e32 vcc_lo, v11, v10
	global_load_b64 v[14:15], v[12:13], off
	global_load_b64 v[8:9], v[5:6], off
	v_subrev_nc_u32_e32 v12, s30, v11
	v_mov_b32_e32 v10, v25
	s_and_b32 s3, s2, vcc_lo
	s_delay_alu instid0(SALU_CYCLE_1)
	s_and_saveexec_b32 s36, s3
	s_cbranch_execz .LBB43_15
; %bb.10:                               ;   in Loop: Header=BB43_9 Depth=2
	v_dual_mov_b32 v16, 0 :: v_dual_mov_b32 v17, 0
	v_mov_b32_e32 v10, v25
	s_mov_b32 s37, 0
	s_branch .LBB43_12
.LBB43_11:                              ;   in Loop: Header=BB43_12 Depth=3
	s_or_b32 exec_lo, exec_lo, s3
	v_cmp_le_i32_e32 vcc_lo, v13, v27
	v_add_co_ci_u32_e32 v10, vcc_lo, 0, v10, vcc_lo
	v_cmp_ge_i32_e32 vcc_lo, v13, v27
	v_add_co_ci_u32_e32 v12, vcc_lo, 0, v12, vcc_lo
	s_delay_alu instid0(VALU_DEP_3) | instskip(NEXT) | instid1(VALU_DEP_2)
	v_cmp_ge_i32_e32 vcc_lo, v10, v24
	v_cmp_ge_i32_e64 s3, v12, v29
	s_delay_alu instid0(VALU_DEP_1) | instskip(NEXT) | instid1(SALU_CYCLE_1)
	s_or_b32 s3, vcc_lo, s3
	s_and_b32 s3, exec_lo, s3
	s_delay_alu instid0(SALU_CYCLE_1) | instskip(NEXT) | instid1(SALU_CYCLE_1)
	s_or_b32 s37, s3, s37
	s_and_not1_b32 exec_lo, exec_lo, s37
	s_cbranch_execz .LBB43_14
.LBB43_12:                              ;   Parent Loop BB43_5 Depth=1
                                        ;     Parent Loop BB43_9 Depth=2
                                        ; =>    This Inner Loop Header: Depth=3
	s_delay_alu instid0(VALU_DEP_1) | instskip(SKIP_2) | instid1(VALU_DEP_2)
	v_ashrrev_i32_e32 v11, 31, v10
	v_ashrrev_i32_e32 v13, 31, v12
	s_mov_b32 s3, exec_lo
	v_lshlrev_b64 v[27:28], 2, v[10:11]
	s_delay_alu instid0(VALU_DEP_2) | instskip(NEXT) | instid1(VALU_DEP_2)
	v_lshlrev_b64 v[5:6], 2, v[12:13]
	v_add_co_u32 v27, vcc_lo, s16, v27
	s_delay_alu instid0(VALU_DEP_3) | instskip(NEXT) | instid1(VALU_DEP_3)
	v_add_co_ci_u32_e32 v28, vcc_lo, s17, v28, vcc_lo
	v_add_co_u32 v30, vcc_lo, s6, v5
	s_delay_alu instid0(VALU_DEP_4)
	v_add_co_ci_u32_e32 v31, vcc_lo, s7, v6, vcc_lo
	global_load_b32 v13, v[27:28], off
	global_load_b32 v27, v[30:31], off
	s_waitcnt vmcnt(0)
	v_cmpx_eq_u32_e64 v13, v27
	s_cbranch_execz .LBB43_11
; %bb.13:                               ;   in Loop: Header=BB43_12 Depth=3
	v_add_co_u32 v5, vcc_lo, s8, v5
	v_add_co_ci_u32_e32 v6, vcc_lo, s9, v6, vcc_lo
	v_lshlrev_b64 v[30:31], 3, v[10:11]
	global_load_b32 v5, v[5:6], off
	v_add_co_u32 v30, vcc_lo, s10, v30
	v_add_co_ci_u32_e32 v31, vcc_lo, s11, v31, vcc_lo
	s_waitcnt vmcnt(0)
	v_ashrrev_i32_e32 v6, 31, v5
	s_delay_alu instid0(VALU_DEP_1) | instskip(NEXT) | instid1(VALU_DEP_1)
	v_lshlrev_b64 v[5:6], 3, v[5:6]
	v_add_co_u32 v5, vcc_lo, s10, v5
	s_delay_alu instid0(VALU_DEP_2)
	v_add_co_ci_u32_e32 v6, vcc_lo, s11, v6, vcc_lo
	s_clause 0x1
	global_load_b64 v[30:31], v[30:31], off
	global_load_b64 v[5:6], v[5:6], off
	s_waitcnt vmcnt(0)
	v_fmac_f32_e32 v16, v30, v5
	v_fmac_f32_e32 v17, v31, v5
	s_delay_alu instid0(VALU_DEP_2) | instskip(NEXT) | instid1(VALU_DEP_2)
	v_fma_f32 v16, -v31, v6, v16
	v_fmac_f32_e32 v17, v30, v6
	s_branch .LBB43_11
.LBB43_14:                              ;   in Loop: Header=BB43_9 Depth=2
	s_or_b32 exec_lo, exec_lo, s37
.LBB43_15:                              ;   in Loop: Header=BB43_9 Depth=2
	s_delay_alu instid0(SALU_CYCLE_1)
	s_or_b32 exec_lo, exec_lo, s36
	s_waitcnt vmcnt(1)
	v_dual_sub_f32 v5, v14, v16 :: v_dual_sub_f32 v6, v15, v17
	s_mov_b32 s3, exec_lo
	v_cmpx_gt_i32_e64 v1, v7
	s_cbranch_execz .LBB43_17
; %bb.16:                               ;   in Loop: Header=BB43_9 Depth=2
	s_waitcnt vmcnt(0)
	v_mul_f32_e32 v11, v9, v9
	s_delay_alu instid0(VALU_DEP_1) | instskip(NEXT) | instid1(VALU_DEP_1)
	v_fmac_f32_e32 v11, v8, v8
	v_div_scale_f32 v13, null, v11, v11, 1.0
	v_div_scale_f32 v30, vcc_lo, 1.0, v11, 1.0
	s_delay_alu instid0(VALU_DEP_2) | instskip(SKIP_2) | instid1(VALU_DEP_1)
	v_rcp_f32_e32 v27, v13
	s_waitcnt_depctr 0xfff
	v_fma_f32 v28, -v13, v27, 1.0
	v_fmac_f32_e32 v27, v28, v27
	s_delay_alu instid0(VALU_DEP_1) | instskip(NEXT) | instid1(VALU_DEP_1)
	v_mul_f32_e32 v28, v30, v27
	v_fma_f32 v31, -v13, v28, v30
	s_delay_alu instid0(VALU_DEP_1) | instskip(NEXT) | instid1(VALU_DEP_1)
	v_fmac_f32_e32 v28, v31, v27
	v_fma_f32 v13, -v13, v28, v30
	s_delay_alu instid0(VALU_DEP_1) | instskip(SKIP_1) | instid1(VALU_DEP_2)
	v_div_fmas_f32 v13, v13, v27, v28
	v_mul_f32_e64 v28, v9, -v5
	v_div_fixup_f32 v11, v13, v11, 1.0
	s_delay_alu instid0(VALU_DEP_2) | instskip(NEXT) | instid1(VALU_DEP_1)
	v_dual_fmac_f32 v28, v6, v8 :: v_dual_mul_f32 v27, v9, v6
	v_mul_f32_e32 v6, v11, v28
	s_delay_alu instid0(VALU_DEP_2) | instskip(NEXT) | instid1(VALU_DEP_1)
	v_fmac_f32_e32 v27, v5, v8
	v_mul_f32_e32 v5, v11, v27
.LBB43_17:                              ;   in Loop: Header=BB43_9 Depth=2
	s_or_b32 exec_lo, exec_lo, s3
	v_dual_sub_f32 v27, v16, v14 :: v_dual_sub_f32 v28, v17, v15
	s_mov_b32 s36, exec_lo
	v_cmpx_lt_i32_e64 v12, v29
	s_cbranch_execz .LBB43_25
; %bb.18:                               ;   in Loop: Header=BB43_9 Depth=2
	v_ashrrev_i32_e32 v13, 31, v12
	s_mov_b32 s38, 0
                                        ; implicit-def: $sgpr37
                                        ; implicit-def: $sgpr40
                                        ; implicit-def: $sgpr39
	s_delay_alu instid0(VALU_DEP_1) | instskip(NEXT) | instid1(VALU_DEP_1)
	v_lshlrev_b64 v[14:15], 2, v[12:13]
	v_add_co_u32 v14, vcc_lo, s6, v14
	s_delay_alu instid0(VALU_DEP_2)
	v_add_co_ci_u32_e32 v15, vcc_lo, s7, v15, vcc_lo
	s_set_inst_prefetch_distance 0x1
	s_branch .LBB43_20
	.p2align	6
.LBB43_19:                              ;   in Loop: Header=BB43_20 Depth=3
	s_or_b32 exec_lo, exec_lo, s41
	s_delay_alu instid0(SALU_CYCLE_1) | instskip(NEXT) | instid1(SALU_CYCLE_1)
	s_and_b32 s3, exec_lo, s40
	s_or_b32 s38, s3, s38
	s_and_not1_b32 s3, s37, exec_lo
	s_and_b32 s37, s39, exec_lo
	s_delay_alu instid0(SALU_CYCLE_1)
	s_or_b32 s37, s3, s37
	s_and_not1_b32 exec_lo, exec_lo, s38
	s_cbranch_execz .LBB43_22
.LBB43_20:                              ;   Parent Loop BB43_5 Depth=1
                                        ;     Parent Loop BB43_9 Depth=2
                                        ; =>    This Inner Loop Header: Depth=3
	global_load_b32 v11, v[14:15], off
	v_dual_mov_b32 v17, v13 :: v_dual_mov_b32 v16, v12
	s_or_b32 s39, s39, exec_lo
	s_or_b32 s40, s40, exec_lo
	s_mov_b32 s41, exec_lo
                                        ; implicit-def: $vgpr12_vgpr13
	s_waitcnt vmcnt(0)
	v_subrev_nc_u32_e32 v11, s30, v11
	s_delay_alu instid0(VALU_DEP_1)
	v_cmpx_ne_u32_e64 v11, v1
	s_cbranch_execz .LBB43_19
; %bb.21:                               ;   in Loop: Header=BB43_20 Depth=3
	v_add_co_u32 v12, vcc_lo, v16, 1
	v_add_co_ci_u32_e32 v13, vcc_lo, 0, v17, vcc_lo
	v_add_co_u32 v14, s3, v14, 4
	s_delay_alu instid0(VALU_DEP_3) | instskip(SKIP_4) | instid1(SALU_CYCLE_1)
	v_cmp_ge_i32_e32 vcc_lo, v12, v29
	v_add_co_ci_u32_e64 v15, s3, 0, v15, s3
	s_and_not1_b32 s3, s40, exec_lo
	s_and_not1_b32 s39, s39, exec_lo
	s_and_b32 s40, vcc_lo, exec_lo
	s_or_b32 s40, s3, s40
	s_branch .LBB43_19
.LBB43_22:                              ;   in Loop: Header=BB43_9 Depth=2
	s_set_inst_prefetch_distance 0x2
	s_or_b32 exec_lo, exec_lo, s38
	s_and_saveexec_b32 s3, s37
	s_delay_alu instid0(SALU_CYCLE_1)
	s_xor_b32 s3, exec_lo, s3
	s_cbranch_execz .LBB43_24
; %bb.23:                               ;   in Loop: Header=BB43_9 Depth=2
	v_lshlrev_b64 v[11:12], 2, v[16:17]
	s_delay_alu instid0(VALU_DEP_1) | instskip(NEXT) | instid1(VALU_DEP_2)
	v_add_co_u32 v11, vcc_lo, s8, v11
	v_add_co_ci_u32_e32 v12, vcc_lo, s9, v12, vcc_lo
	global_load_b32 v11, v[11:12], off
	s_waitcnt vmcnt(0)
	v_ashrrev_i32_e32 v12, 31, v11
	s_delay_alu instid0(VALU_DEP_1) | instskip(NEXT) | instid1(VALU_DEP_1)
	v_lshlrev_b64 v[11:12], 3, v[11:12]
	v_add_co_u32 v11, vcc_lo, s10, v11
	s_delay_alu instid0(VALU_DEP_2)
	v_add_co_ci_u32_e32 v12, vcc_lo, s11, v12, vcc_lo
	global_load_b64 v[11:12], v[11:12], off
	s_waitcnt vmcnt(0)
	v_dual_add_f32 v27, v27, v11 :: v_dual_add_f32 v28, v28, v12
.LBB43_24:                              ;   in Loop: Header=BB43_9 Depth=2
	s_or_b32 exec_lo, exec_lo, s3
.LBB43_25:                              ;   in Loop: Header=BB43_9 Depth=2
	s_delay_alu instid0(SALU_CYCLE_1) | instskip(NEXT) | instid1(SALU_CYCLE_1)
	s_or_b32 exec_lo, exec_lo, s36
	s_mov_b32 s36, exec_lo
	v_cmpx_lt_i32_e64 v10, v24
	s_cbranch_execz .LBB43_33
; %bb.26:                               ;   in Loop: Header=BB43_9 Depth=2
	v_ashrrev_i32_e32 v11, 31, v10
	s_mov_b32 s38, 0
                                        ; implicit-def: $sgpr37
                                        ; implicit-def: $sgpr40
                                        ; implicit-def: $sgpr39
	s_delay_alu instid0(VALU_DEP_1) | instskip(NEXT) | instid1(VALU_DEP_1)
	v_lshlrev_b64 v[12:13], 2, v[10:11]
	v_add_co_u32 v12, vcc_lo, s16, v12
	s_delay_alu instid0(VALU_DEP_2)
	v_add_co_ci_u32_e32 v13, vcc_lo, s17, v13, vcc_lo
	s_set_inst_prefetch_distance 0x1
	s_branch .LBB43_28
	.p2align	6
.LBB43_27:                              ;   in Loop: Header=BB43_28 Depth=3
	s_or_b32 exec_lo, exec_lo, s41
	s_delay_alu instid0(SALU_CYCLE_1) | instskip(NEXT) | instid1(SALU_CYCLE_1)
	s_and_b32 s3, exec_lo, s40
	s_or_b32 s38, s3, s38
	s_and_not1_b32 s3, s37, exec_lo
	s_and_b32 s37, s39, exec_lo
	s_delay_alu instid0(SALU_CYCLE_1)
	s_or_b32 s37, s3, s37
	s_and_not1_b32 exec_lo, exec_lo, s38
	s_cbranch_execz .LBB43_30
.LBB43_28:                              ;   Parent Loop BB43_5 Depth=1
                                        ;     Parent Loop BB43_9 Depth=2
                                        ; =>    This Inner Loop Header: Depth=3
	global_load_b32 v16, v[12:13], off
	v_dual_mov_b32 v15, v11 :: v_dual_mov_b32 v14, v10
	s_or_b32 s39, s39, exec_lo
	s_or_b32 s40, s40, exec_lo
	s_mov_b32 s41, exec_lo
                                        ; implicit-def: $vgpr10_vgpr11
	s_waitcnt vmcnt(0)
	v_cmpx_ne_u32_e64 v16, v26
	s_cbranch_execz .LBB43_27
; %bb.29:                               ;   in Loop: Header=BB43_28 Depth=3
	v_add_co_u32 v10, vcc_lo, v14, 1
	v_add_co_ci_u32_e32 v11, vcc_lo, 0, v15, vcc_lo
	v_add_co_u32 v12, s3, v12, 4
	s_delay_alu instid0(VALU_DEP_3) | instskip(SKIP_4) | instid1(SALU_CYCLE_1)
	v_cmp_ge_i32_e32 vcc_lo, v10, v24
	v_add_co_ci_u32_e64 v13, s3, 0, v13, s3
	s_and_not1_b32 s3, s40, exec_lo
	s_and_not1_b32 s39, s39, exec_lo
	s_and_b32 s40, vcc_lo, exec_lo
	s_or_b32 s40, s3, s40
	s_branch .LBB43_27
.LBB43_30:                              ;   in Loop: Header=BB43_9 Depth=2
	s_set_inst_prefetch_distance 0x2
	s_or_b32 exec_lo, exec_lo, s38
	s_and_saveexec_b32 s3, s37
	s_delay_alu instid0(SALU_CYCLE_1)
	s_xor_b32 s3, exec_lo, s3
	s_cbranch_execz .LBB43_32
; %bb.31:                               ;   in Loop: Header=BB43_9 Depth=2
	v_lshlrev_b64 v[10:11], 3, v[14:15]
	s_delay_alu instid0(VALU_DEP_1) | instskip(NEXT) | instid1(VALU_DEP_2)
	v_add_co_u32 v10, vcc_lo, s10, v10
	v_add_co_ci_u32_e32 v11, vcc_lo, s11, v11, vcc_lo
	global_load_b64 v[10:11], v[10:11], off
	s_waitcnt vmcnt(0)
	v_fmac_f32_e32 v27, v10, v8
	v_fmac_f32_e32 v28, v11, v8
	s_delay_alu instid0(VALU_DEP_2) | instskip(NEXT) | instid1(VALU_DEP_2)
	v_fma_f32 v27, -v11, v9, v27
	v_fmac_f32_e32 v28, v10, v9
.LBB43_32:                              ;   in Loop: Header=BB43_9 Depth=2
	s_or_b32 exec_lo, exec_lo, s3
.LBB43_33:                              ;   in Loop: Header=BB43_9 Depth=2
	s_delay_alu instid0(SALU_CYCLE_1) | instskip(SKIP_1) | instid1(VALU_DEP_1)
	s_or_b32 exec_lo, exec_lo, s36
	s_waitcnt vmcnt(0)
	v_dual_add_f32 v8, v8, v27 :: v_dual_add_f32 v9, v9, v28
	v_cmp_eq_u32_e32 vcc_lo, v1, v7
	s_mov_b32 s3, exec_lo
	s_delay_alu instid0(VALU_DEP_2) | instskip(NEXT) | instid1(VALU_DEP_1)
	v_dual_cndmask_b32 v10, v28, v9 :: v_dual_cndmask_b32 v7, v27, v8
	v_cmp_gt_f32_e32 vcc_lo, 0, v7
	v_cndmask_b32_e64 v8, v7, -v7, vcc_lo
	s_delay_alu instid0(VALU_DEP_3) | instskip(SKIP_1) | instid1(VALU_DEP_1)
	v_cmp_gt_f32_e32 vcc_lo, 0, v10
                                        ; implicit-def: $vgpr7
	v_cndmask_b32_e64 v9, v10, -v10, vcc_lo
	v_cmpx_ngt_f32_e32 v8, v9
	s_xor_b32 s36, exec_lo, s3
	s_cbranch_execz .LBB43_37
; %bb.34:                               ;   in Loop: Header=BB43_9 Depth=2
	v_mov_b32_e32 v7, 0
	s_mov_b32 s37, exec_lo
	v_cmpx_neq_f32_e32 0, v10
	s_cbranch_execz .LBB43_36
; %bb.35:                               ;   in Loop: Header=BB43_9 Depth=2
	v_div_scale_f32 v7, null, v9, v9, v8
	v_div_scale_f32 v12, vcc_lo, v8, v9, v8
	s_delay_alu instid0(VALU_DEP_2) | instskip(SKIP_2) | instid1(VALU_DEP_1)
	v_rcp_f32_e32 v10, v7
	s_waitcnt_depctr 0xfff
	v_fma_f32 v11, -v7, v10, 1.0
	v_fmac_f32_e32 v10, v11, v10
	s_delay_alu instid0(VALU_DEP_1) | instskip(NEXT) | instid1(VALU_DEP_1)
	v_mul_f32_e32 v11, v12, v10
	v_fma_f32 v13, -v7, v11, v12
	s_delay_alu instid0(VALU_DEP_1) | instskip(NEXT) | instid1(VALU_DEP_1)
	v_fmac_f32_e32 v11, v13, v10
	v_fma_f32 v7, -v7, v11, v12
	s_delay_alu instid0(VALU_DEP_1) | instskip(NEXT) | instid1(VALU_DEP_1)
	v_div_fmas_f32 v7, v7, v10, v11
	v_div_fixup_f32 v7, v7, v9, v8
	s_delay_alu instid0(VALU_DEP_1) | instskip(NEXT) | instid1(VALU_DEP_1)
	v_fma_f32 v7, v7, v7, 1.0
	v_mul_f32_e32 v8, 0x4f800000, v7
	v_cmp_gt_f32_e32 vcc_lo, 0xf800000, v7
	s_delay_alu instid0(VALU_DEP_2) | instskip(NEXT) | instid1(VALU_DEP_1)
	v_cndmask_b32_e32 v7, v7, v8, vcc_lo
	v_sqrt_f32_e32 v8, v7
	s_waitcnt_depctr 0xfff
	v_add_nc_u32_e32 v10, -1, v8
	v_add_nc_u32_e32 v11, 1, v8
	s_delay_alu instid0(VALU_DEP_2) | instskip(NEXT) | instid1(VALU_DEP_2)
	v_fma_f32 v12, -v10, v8, v7
	v_fma_f32 v13, -v11, v8, v7
	s_delay_alu instid0(VALU_DEP_2) | instskip(NEXT) | instid1(VALU_DEP_1)
	v_cmp_ge_f32_e64 s3, 0, v12
	v_cndmask_b32_e64 v8, v8, v10, s3
	s_delay_alu instid0(VALU_DEP_3) | instskip(NEXT) | instid1(VALU_DEP_1)
	v_cmp_lt_f32_e64 s3, 0, v13
	v_cndmask_b32_e64 v8, v8, v11, s3
	s_delay_alu instid0(VALU_DEP_1) | instskip(NEXT) | instid1(VALU_DEP_1)
	v_mul_f32_e32 v10, 0x37800000, v8
	v_cndmask_b32_e32 v8, v8, v10, vcc_lo
	v_cmp_class_f32_e64 vcc_lo, v7, 0x260
	s_delay_alu instid0(VALU_DEP_2) | instskip(NEXT) | instid1(VALU_DEP_1)
	v_cndmask_b32_e32 v7, v8, v7, vcc_lo
	v_mul_f32_e32 v7, v9, v7
.LBB43_36:                              ;   in Loop: Header=BB43_9 Depth=2
	s_or_b32 exec_lo, exec_lo, s37
                                        ; implicit-def: $vgpr8
                                        ; implicit-def: $vgpr9
.LBB43_37:                              ;   in Loop: Header=BB43_9 Depth=2
	s_and_not1_saveexec_b32 s36, s36
	s_cbranch_execz .LBB43_39
; %bb.38:                               ;   in Loop: Header=BB43_9 Depth=2
	v_div_scale_f32 v7, null, v8, v8, v9
	v_div_scale_f32 v12, vcc_lo, v9, v8, v9
	s_delay_alu instid0(VALU_DEP_2) | instskip(SKIP_2) | instid1(VALU_DEP_1)
	v_rcp_f32_e32 v10, v7
	s_waitcnt_depctr 0xfff
	v_fma_f32 v11, -v7, v10, 1.0
	v_fmac_f32_e32 v10, v11, v10
	s_delay_alu instid0(VALU_DEP_1) | instskip(NEXT) | instid1(VALU_DEP_1)
	v_mul_f32_e32 v11, v12, v10
	v_fma_f32 v13, -v7, v11, v12
	s_delay_alu instid0(VALU_DEP_1) | instskip(NEXT) | instid1(VALU_DEP_1)
	v_fmac_f32_e32 v11, v13, v10
	v_fma_f32 v7, -v7, v11, v12
	s_delay_alu instid0(VALU_DEP_1) | instskip(NEXT) | instid1(VALU_DEP_1)
	v_div_fmas_f32 v7, v7, v10, v11
	v_div_fixup_f32 v7, v7, v8, v9
	s_delay_alu instid0(VALU_DEP_1) | instskip(NEXT) | instid1(VALU_DEP_1)
	v_fma_f32 v7, v7, v7, 1.0
	v_mul_f32_e32 v9, 0x4f800000, v7
	v_cmp_gt_f32_e32 vcc_lo, 0xf800000, v7
	s_delay_alu instid0(VALU_DEP_2) | instskip(NEXT) | instid1(VALU_DEP_1)
	v_cndmask_b32_e32 v7, v7, v9, vcc_lo
	v_sqrt_f32_e32 v9, v7
	s_waitcnt_depctr 0xfff
	v_add_nc_u32_e32 v10, -1, v9
	v_add_nc_u32_e32 v11, 1, v9
	s_delay_alu instid0(VALU_DEP_2) | instskip(NEXT) | instid1(VALU_DEP_2)
	v_fma_f32 v12, -v10, v9, v7
	v_fma_f32 v13, -v11, v9, v7
	s_delay_alu instid0(VALU_DEP_2) | instskip(NEXT) | instid1(VALU_DEP_1)
	v_cmp_ge_f32_e64 s3, 0, v12
	v_cndmask_b32_e64 v9, v9, v10, s3
	s_delay_alu instid0(VALU_DEP_3) | instskip(NEXT) | instid1(VALU_DEP_1)
	v_cmp_lt_f32_e64 s3, 0, v13
	v_cndmask_b32_e64 v9, v9, v11, s3
	s_delay_alu instid0(VALU_DEP_1) | instskip(NEXT) | instid1(VALU_DEP_1)
	v_mul_f32_e32 v10, 0x37800000, v9
	v_cndmask_b32_e32 v9, v9, v10, vcc_lo
	v_cmp_class_f32_e64 vcc_lo, v7, 0x260
	s_delay_alu instid0(VALU_DEP_2) | instskip(NEXT) | instid1(VALU_DEP_1)
	v_cndmask_b32_e32 v7, v9, v7, vcc_lo
	v_mul_f32_e32 v7, v8, v7
.LBB43_39:                              ;   in Loop: Header=BB43_9 Depth=2
	s_or_b32 exec_lo, exec_lo, s36
	v_cmp_gt_f32_e32 vcc_lo, 0, v5
                                        ; implicit-def: $vgpr10
	s_mov_b32 s3, exec_lo
	v_cndmask_b32_e64 v8, v5, -v5, vcc_lo
	v_cmp_gt_f32_e32 vcc_lo, 0, v6
	v_cndmask_b32_e64 v9, v6, -v6, vcc_lo
	s_delay_alu instid0(VALU_DEP_1)
	v_cmpx_ngt_f32_e32 v8, v9
	s_xor_b32 s36, exec_lo, s3
	s_cbranch_execnz .LBB43_42
; %bb.40:                               ;   in Loop: Header=BB43_9 Depth=2
	s_and_not1_saveexec_b32 s36, s36
	s_cbranch_execnz .LBB43_45
.LBB43_41:                              ;   in Loop: Header=BB43_9 Depth=2
	s_or_b32 exec_lo, exec_lo, s36
	v_cmp_class_f32_e64 s36, v10, 0x1f8
	s_delay_alu instid0(VALU_DEP_1)
	s_and_saveexec_b32 s3, s36
	s_cbranch_execz .LBB43_8
	s_branch .LBB43_46
.LBB43_42:                              ;   in Loop: Header=BB43_9 Depth=2
	v_mov_b32_e32 v10, 0
	s_mov_b32 s37, exec_lo
	v_cmpx_neq_f32_e32 0, v6
	s_cbranch_execz .LBB43_44
; %bb.43:                               ;   in Loop: Header=BB43_9 Depth=2
	v_div_scale_f32 v10, null, v9, v9, v8
	v_div_scale_f32 v13, vcc_lo, v8, v9, v8
	s_delay_alu instid0(VALU_DEP_2) | instskip(SKIP_2) | instid1(VALU_DEP_1)
	v_rcp_f32_e32 v11, v10
	s_waitcnt_depctr 0xfff
	v_fma_f32 v12, -v10, v11, 1.0
	v_fmac_f32_e32 v11, v12, v11
	s_delay_alu instid0(VALU_DEP_1) | instskip(NEXT) | instid1(VALU_DEP_1)
	v_mul_f32_e32 v12, v13, v11
	v_fma_f32 v14, -v10, v12, v13
	s_delay_alu instid0(VALU_DEP_1) | instskip(NEXT) | instid1(VALU_DEP_1)
	v_fmac_f32_e32 v12, v14, v11
	v_fma_f32 v10, -v10, v12, v13
	s_delay_alu instid0(VALU_DEP_1) | instskip(NEXT) | instid1(VALU_DEP_1)
	v_div_fmas_f32 v10, v10, v11, v12
	v_div_fixup_f32 v8, v10, v9, v8
	s_delay_alu instid0(VALU_DEP_1) | instskip(NEXT) | instid1(VALU_DEP_1)
	v_fma_f32 v8, v8, v8, 1.0
	v_mul_f32_e32 v10, 0x4f800000, v8
	v_cmp_gt_f32_e32 vcc_lo, 0xf800000, v8
	s_delay_alu instid0(VALU_DEP_2) | instskip(NEXT) | instid1(VALU_DEP_1)
	v_cndmask_b32_e32 v8, v8, v10, vcc_lo
	v_sqrt_f32_e32 v10, v8
	s_waitcnt_depctr 0xfff
	v_add_nc_u32_e32 v11, -1, v10
	v_add_nc_u32_e32 v12, 1, v10
	s_delay_alu instid0(VALU_DEP_2) | instskip(NEXT) | instid1(VALU_DEP_2)
	v_fma_f32 v13, -v11, v10, v8
	v_fma_f32 v14, -v12, v10, v8
	s_delay_alu instid0(VALU_DEP_2) | instskip(NEXT) | instid1(VALU_DEP_1)
	v_cmp_ge_f32_e64 s3, 0, v13
	v_cndmask_b32_e64 v10, v10, v11, s3
	s_delay_alu instid0(VALU_DEP_3) | instskip(NEXT) | instid1(VALU_DEP_1)
	v_cmp_lt_f32_e64 s3, 0, v14
	v_cndmask_b32_e64 v10, v10, v12, s3
	s_delay_alu instid0(VALU_DEP_1) | instskip(NEXT) | instid1(VALU_DEP_1)
	v_mul_f32_e32 v11, 0x37800000, v10
	v_cndmask_b32_e32 v10, v10, v11, vcc_lo
	v_cmp_class_f32_e64 vcc_lo, v8, 0x260
	s_delay_alu instid0(VALU_DEP_2) | instskip(NEXT) | instid1(VALU_DEP_1)
	v_cndmask_b32_e32 v8, v10, v8, vcc_lo
	v_mul_f32_e32 v10, v9, v8
.LBB43_44:                              ;   in Loop: Header=BB43_9 Depth=2
	s_or_b32 exec_lo, exec_lo, s37
                                        ; implicit-def: $vgpr8
                                        ; implicit-def: $vgpr9
	s_and_not1_saveexec_b32 s36, s36
	s_cbranch_execz .LBB43_41
.LBB43_45:                              ;   in Loop: Header=BB43_9 Depth=2
	v_div_scale_f32 v10, null, v8, v8, v9
	v_div_scale_f32 v13, vcc_lo, v9, v8, v9
	s_delay_alu instid0(VALU_DEP_2) | instskip(SKIP_2) | instid1(VALU_DEP_1)
	v_rcp_f32_e32 v11, v10
	s_waitcnt_depctr 0xfff
	v_fma_f32 v12, -v10, v11, 1.0
	v_fmac_f32_e32 v11, v12, v11
	s_delay_alu instid0(VALU_DEP_1) | instskip(NEXT) | instid1(VALU_DEP_1)
	v_mul_f32_e32 v12, v13, v11
	v_fma_f32 v14, -v10, v12, v13
	s_delay_alu instid0(VALU_DEP_1) | instskip(NEXT) | instid1(VALU_DEP_1)
	v_fmac_f32_e32 v12, v14, v11
	v_fma_f32 v10, -v10, v12, v13
	s_delay_alu instid0(VALU_DEP_1) | instskip(NEXT) | instid1(VALU_DEP_1)
	v_div_fmas_f32 v10, v10, v11, v12
	v_div_fixup_f32 v9, v10, v8, v9
	s_delay_alu instid0(VALU_DEP_1) | instskip(NEXT) | instid1(VALU_DEP_1)
	v_fma_f32 v9, v9, v9, 1.0
	v_mul_f32_e32 v10, 0x4f800000, v9
	v_cmp_gt_f32_e32 vcc_lo, 0xf800000, v9
	s_delay_alu instid0(VALU_DEP_2) | instskip(NEXT) | instid1(VALU_DEP_1)
	v_cndmask_b32_e32 v9, v9, v10, vcc_lo
	v_sqrt_f32_e32 v10, v9
	s_waitcnt_depctr 0xfff
	v_add_nc_u32_e32 v11, -1, v10
	v_add_nc_u32_e32 v12, 1, v10
	s_delay_alu instid0(VALU_DEP_2) | instskip(NEXT) | instid1(VALU_DEP_2)
	v_fma_f32 v13, -v11, v10, v9
	v_fma_f32 v14, -v12, v10, v9
	s_delay_alu instid0(VALU_DEP_2) | instskip(NEXT) | instid1(VALU_DEP_1)
	v_cmp_ge_f32_e64 s3, 0, v13
	v_cndmask_b32_e64 v10, v10, v11, s3
	s_delay_alu instid0(VALU_DEP_3) | instskip(NEXT) | instid1(VALU_DEP_1)
	v_cmp_lt_f32_e64 s3, 0, v14
	v_cndmask_b32_e64 v10, v10, v12, s3
	s_delay_alu instid0(VALU_DEP_1) | instskip(NEXT) | instid1(VALU_DEP_1)
	v_mul_f32_e32 v11, 0x37800000, v10
	v_cndmask_b32_e32 v10, v10, v11, vcc_lo
	v_cmp_class_f32_e64 vcc_lo, v9, 0x260
	s_delay_alu instid0(VALU_DEP_2) | instskip(NEXT) | instid1(VALU_DEP_1)
	v_cndmask_b32_e32 v9, v10, v9, vcc_lo
	v_mul_f32_e32 v10, v8, v9
	s_or_b32 exec_lo, exec_lo, s36
	s_delay_alu instid0(VALU_DEP_1) | instskip(NEXT) | instid1(VALU_DEP_1)
	v_cmp_class_f32_e64 s36, v10, 0x1f8
	s_and_saveexec_b32 s3, s36
	s_cbranch_execz .LBB43_8
.LBB43_46:                              ;   in Loop: Header=BB43_9 Depth=2
	v_add_co_u32 v3, vcc_lo, s10, v3
	v_add_co_ci_u32_e32 v4, vcc_lo, s11, v4, vcc_lo
	global_store_b64 v[3:4], v[5:6], off
	s_branch .LBB43_8
.LBB43_47:
	s_or_b32 exec_lo, exec_lo, s29
	v_mbcnt_lo_u32_b32 v1, -1, 0
	s_mov_b32 s2, exec_lo
	s_delay_alu instid0(VALU_DEP_1) | instskip(SKIP_2) | instid1(VALU_DEP_3)
	v_xor_b32_e32 v2, 16, v1
	v_xor_b32_e32 v3, 8, v1
	;; [unrolled: 1-line block ×3, first 2 shown]
	v_cmp_gt_i32_e32 vcc_lo, 32, v2
	v_cndmask_b32_e32 v2, v1, v2, vcc_lo
	s_delay_alu instid0(VALU_DEP_4) | instskip(SKIP_1) | instid1(VALU_DEP_1)
	v_cmp_gt_i32_e32 vcc_lo, 32, v3
	v_cndmask_b32_e32 v3, v1, v3, vcc_lo
	v_lshlrev_b32_e32 v3, 2, v3
	s_delay_alu instid0(VALU_DEP_4)
	v_lshlrev_b32_e32 v2, 2, v2
	ds_bpermute_b32 v2, v2, v21
	s_waitcnt lgkmcnt(0)
	v_cmp_lt_f32_e32 vcc_lo, v21, v2
	v_cndmask_b32_e32 v2, v21, v2, vcc_lo
	v_cmp_gt_i32_e32 vcc_lo, 32, v4
	ds_bpermute_b32 v3, v3, v2
	v_cndmask_b32_e32 v4, v1, v4, vcc_lo
	s_delay_alu instid0(VALU_DEP_1)
	v_lshlrev_b32_e32 v4, 2, v4
	s_waitcnt lgkmcnt(0)
	v_cmp_lt_f32_e32 vcc_lo, v2, v3
	v_cndmask_b32_e32 v2, v2, v3, vcc_lo
	ds_bpermute_b32 v3, v4, v2
	v_xor_b32_e32 v4, 2, v1
	s_delay_alu instid0(VALU_DEP_1) | instskip(SKIP_1) | instid1(VALU_DEP_1)
	v_cmp_gt_i32_e32 vcc_lo, 32, v4
	v_cndmask_b32_e32 v4, v1, v4, vcc_lo
	v_lshlrev_b32_e32 v4, 2, v4
	s_waitcnt lgkmcnt(0)
	v_cmp_lt_f32_e32 vcc_lo, v2, v3
	v_cndmask_b32_e32 v2, v2, v3, vcc_lo
	ds_bpermute_b32 v3, v4, v2
	v_xor_b32_e32 v4, 1, v1
	s_delay_alu instid0(VALU_DEP_1) | instskip(SKIP_3) | instid1(VALU_DEP_2)
	v_cmp_gt_i32_e32 vcc_lo, 32, v4
	v_cndmask_b32_e32 v4, v1, v4, vcc_lo
	s_waitcnt lgkmcnt(0)
	v_cmp_lt_f32_e32 vcc_lo, v2, v3
	v_dual_cndmask_b32 v1, v2, v3 :: v_dual_lshlrev_b32 v2, 2, v4
	ds_bpermute_b32 v2, v2, v1
	v_cmpx_eq_u32_e32 31, v19
	s_cbranch_execz .LBB43_49
; %bb.48:
	s_waitcnt lgkmcnt(0)
	v_cmp_lt_f32_e32 vcc_lo, v1, v2
	v_lshlrev_b32_e32 v3, 2, v18
	v_cndmask_b32_e32 v1, v1, v2, vcc_lo
	ds_store_b32 v3, v1
.LBB43_49:
	s_or_b32 exec_lo, exec_lo, s2
	v_lshlrev_b32_e32 v1, 2, v0
	s_mov_b32 s2, exec_lo
	s_waitcnt lgkmcnt(0)
	s_waitcnt_vscnt null, 0x0
	s_barrier
	buffer_gl0_inv
	v_cmpx_gt_u32_e32 16, v0
	s_cbranch_execz .LBB43_51
; %bb.50:
	ds_load_2addr_b32 v[2:3], v1 offset1:16
	s_waitcnt lgkmcnt(0)
	v_cmp_lt_f32_e32 vcc_lo, v2, v3
	v_cndmask_b32_e32 v2, v2, v3, vcc_lo
	ds_store_b32 v1, v2
.LBB43_51:
	s_or_b32 exec_lo, exec_lo, s2
	s_delay_alu instid0(SALU_CYCLE_1)
	s_mov_b32 s2, exec_lo
	s_waitcnt lgkmcnt(0)
	s_barrier
	buffer_gl0_inv
	v_cmpx_gt_u32_e32 8, v0
	s_cbranch_execz .LBB43_53
; %bb.52:
	ds_load_2addr_b32 v[2:3], v1 offset1:8
	s_waitcnt lgkmcnt(0)
	v_cmp_lt_f32_e32 vcc_lo, v2, v3
	v_cndmask_b32_e32 v2, v2, v3, vcc_lo
	ds_store_b32 v1, v2
.LBB43_53:
	s_or_b32 exec_lo, exec_lo, s2
	s_delay_alu instid0(SALU_CYCLE_1)
	s_mov_b32 s2, exec_lo
	s_waitcnt lgkmcnt(0)
	;; [unrolled: 15-line block ×3, first 2 shown]
	s_barrier
	buffer_gl0_inv
	v_cmpx_gt_u32_e32 2, v0
	s_cbranch_execz .LBB43_57
; %bb.56:
	ds_load_2addr_b32 v[2:3], v1 offset1:2
	s_waitcnt lgkmcnt(0)
	v_cmp_lt_f32_e32 vcc_lo, v2, v3
	v_cndmask_b32_e32 v2, v2, v3, vcc_lo
	ds_store_b32 v1, v2
.LBB43_57:
	s_or_b32 exec_lo, exec_lo, s2
	v_cmp_eq_u32_e32 vcc_lo, 0, v0
	s_waitcnt lgkmcnt(0)
	s_barrier
	buffer_gl0_inv
	s_and_saveexec_b32 s3, vcc_lo
	s_cbranch_execz .LBB43_59
; %bb.58:
	v_mov_b32_e32 v2, 0
	ds_load_b64 v[0:1], v2
	s_waitcnt lgkmcnt(0)
	v_cmp_lt_f32_e64 s2, v0, v1
	s_delay_alu instid0(VALU_DEP_1)
	v_cndmask_b32_e64 v0, v0, v1, s2
	ds_store_b32 v2, v0
.LBB43_59:
	s_or_b32 exec_lo, exec_lo, s3
	s_waitcnt lgkmcnt(0)
	s_barrier
	buffer_gl0_inv
	s_and_saveexec_b32 s2, vcc_lo
	s_cbranch_execz .LBB43_64
; %bb.60:
	s_load_b128 s[4:7], s[0:1], 0x70
	v_mov_b32_e32 v2, 0
	s_mov_b32 s1, 0
                                        ; implicit-def: $sgpr2
                                        ; implicit-def: $sgpr3
	ds_load_b32 v0, v2
	s_waitcnt lgkmcnt(0)
	s_load_b32 s0, s[6:7], 0x0
	s_waitcnt lgkmcnt(0)
	v_div_scale_f32 v3, null, s0, s0, v0
	v_div_scale_f32 v6, vcc_lo, v0, s0, v0
	s_delay_alu instid0(VALU_DEP_2) | instskip(SKIP_2) | instid1(VALU_DEP_1)
	v_rcp_f32_e32 v4, v3
	s_waitcnt_depctr 0xfff
	v_fma_f32 v5, -v3, v4, 1.0
	v_fmac_f32_e32 v4, v5, v4
	s_delay_alu instid0(VALU_DEP_1) | instskip(SKIP_2) | instid1(VALU_DEP_1)
	v_mul_f32_e32 v5, v6, v4
	global_load_b32 v1, v2, s[4:5] glc
	v_fma_f32 v7, -v3, v5, v6
	v_fmac_f32_e32 v5, v7, v4
	s_delay_alu instid0(VALU_DEP_1) | instskip(NEXT) | instid1(VALU_DEP_1)
	v_fma_f32 v3, -v3, v5, v6
	v_div_fmas_f32 v3, v3, v4, v5
	s_delay_alu instid0(VALU_DEP_1) | instskip(NEXT) | instid1(VALU_DEP_1)
	v_div_fixup_f32 v0, v3, s0, v0
	v_cmp_eq_f32_e32 vcc_lo, 0, v0
	s_waitcnt vmcnt(0)
	v_cmp_eq_u32_e64 s6, 0x80000000, v1
	s_set_inst_prefetch_distance 0x1
	s_branch .LBB43_62
	.p2align	6
.LBB43_61:                              ;   in Loop: Header=BB43_62 Depth=1
	s_or_b32 exec_lo, exec_lo, s7
	s_delay_alu instid0(SALU_CYCLE_1) | instskip(NEXT) | instid1(SALU_CYCLE_1)
	s_and_b32 s0, exec_lo, s2
	s_or_b32 s1, s0, s1
	s_and_not1_b32 s0, s6, exec_lo
	s_and_b32 s6, s3, exec_lo
	s_delay_alu instid0(SALU_CYCLE_1)
	s_or_b32 s6, s0, s6
	s_and_not1_b32 exec_lo, exec_lo, s1
	s_cbranch_execz .LBB43_64
.LBB43_62:                              ; =>This Inner Loop Header: Depth=1
	v_cmp_lt_f32_e64 s0, v1, v0
	s_delay_alu instid0(VALU_DEP_2) | instskip(SKIP_2) | instid1(VALU_DEP_1)
	s_and_b32 s7, vcc_lo, s6
	s_and_not1_b32 s3, s3, exec_lo
	s_or_b32 s2, s2, exec_lo
	s_or_b32 s0, s0, s7
	s_delay_alu instid0(SALU_CYCLE_1)
	s_and_saveexec_b32 s7, s0
	s_cbranch_execz .LBB43_61
; %bb.63:                               ;   in Loop: Header=BB43_62 Depth=1
	global_atomic_cmpswap_b32 v3, v2, v[0:1], s[4:5] glc
	s_and_not1_b32 s3, s3, exec_lo
	s_and_not1_b32 s2, s2, exec_lo
	s_waitcnt vmcnt(0)
	v_cmp_eq_u32_e64 s0, v3, v1
	s_delay_alu instid0(VALU_DEP_1) | instskip(SKIP_1) | instid1(SALU_CYCLE_1)
	v_cndmask_b32_e64 v1, v3, v1, s0
	s_and_b32 s0, s0, exec_lo
	s_or_b32 s2, s2, s0
	s_delay_alu instid0(VALU_DEP_1) | instskip(SKIP_1) | instid1(VALU_DEP_2)
	v_cmp_class_f32_e64 s6, v1, 32
	v_mov_b32_e32 v1, v3
	s_and_b32 s6, s6, exec_lo
	s_delay_alu instid0(SALU_CYCLE_1)
	s_or_b32 s3, s3, s6
                                        ; implicit-def: $sgpr6
	s_branch .LBB43_61
.LBB43_64:
	s_set_inst_prefetch_distance 0x2
	s_endpgm
	.section	.rodata,"a",@progbits
	.p2align	6, 0x0
	.amdhsa_kernel _ZN9rocsparseL16kernel_calculateILi1024ELi32ELb1E21rocsparse_complex_numIfEiiEEvT4_T3_PKS4_S6_PKS3_PKT2_21rocsparse_index_base_S6_S6_S8_S6_S6_S8_S6_PS9_PNS_15floating_traitsIS9_E6data_tEPKSG_
		.amdhsa_group_segment_fixed_size 128
		.amdhsa_private_segment_fixed_size 0
		.amdhsa_kernarg_size 128
		.amdhsa_user_sgpr_count 15
		.amdhsa_user_sgpr_dispatch_ptr 0
		.amdhsa_user_sgpr_queue_ptr 0
		.amdhsa_user_sgpr_kernarg_segment_ptr 1
		.amdhsa_user_sgpr_dispatch_id 0
		.amdhsa_user_sgpr_private_segment_size 0
		.amdhsa_wavefront_size32 1
		.amdhsa_uses_dynamic_stack 0
		.amdhsa_enable_private_segment 0
		.amdhsa_system_sgpr_workgroup_id_x 1
		.amdhsa_system_sgpr_workgroup_id_y 0
		.amdhsa_system_sgpr_workgroup_id_z 0
		.amdhsa_system_sgpr_workgroup_info 0
		.amdhsa_system_vgpr_workitem_id 0
		.amdhsa_next_free_vgpr 32
		.amdhsa_next_free_sgpr 42
		.amdhsa_reserve_vcc 1
		.amdhsa_float_round_mode_32 0
		.amdhsa_float_round_mode_16_64 0
		.amdhsa_float_denorm_mode_32 3
		.amdhsa_float_denorm_mode_16_64 3
		.amdhsa_dx10_clamp 1
		.amdhsa_ieee_mode 1
		.amdhsa_fp16_overflow 0
		.amdhsa_workgroup_processor_mode 1
		.amdhsa_memory_ordered 1
		.amdhsa_forward_progress 0
		.amdhsa_shared_vgpr_count 0
		.amdhsa_exception_fp_ieee_invalid_op 0
		.amdhsa_exception_fp_denorm_src 0
		.amdhsa_exception_fp_ieee_div_zero 0
		.amdhsa_exception_fp_ieee_overflow 0
		.amdhsa_exception_fp_ieee_underflow 0
		.amdhsa_exception_fp_ieee_inexact 0
		.amdhsa_exception_int_div_zero 0
	.end_amdhsa_kernel
	.section	.text._ZN9rocsparseL16kernel_calculateILi1024ELi32ELb1E21rocsparse_complex_numIfEiiEEvT4_T3_PKS4_S6_PKS3_PKT2_21rocsparse_index_base_S6_S6_S8_S6_S6_S8_S6_PS9_PNS_15floating_traitsIS9_E6data_tEPKSG_,"axG",@progbits,_ZN9rocsparseL16kernel_calculateILi1024ELi32ELb1E21rocsparse_complex_numIfEiiEEvT4_T3_PKS4_S6_PKS3_PKT2_21rocsparse_index_base_S6_S6_S8_S6_S6_S8_S6_PS9_PNS_15floating_traitsIS9_E6data_tEPKSG_,comdat
.Lfunc_end43:
	.size	_ZN9rocsparseL16kernel_calculateILi1024ELi32ELb1E21rocsparse_complex_numIfEiiEEvT4_T3_PKS4_S6_PKS3_PKT2_21rocsparse_index_base_S6_S6_S8_S6_S6_S8_S6_PS9_PNS_15floating_traitsIS9_E6data_tEPKSG_, .Lfunc_end43-_ZN9rocsparseL16kernel_calculateILi1024ELi32ELb1E21rocsparse_complex_numIfEiiEEvT4_T3_PKS4_S6_PKS3_PKT2_21rocsparse_index_base_S6_S6_S8_S6_S6_S8_S6_PS9_PNS_15floating_traitsIS9_E6data_tEPKSG_
                                        ; -- End function
	.section	.AMDGPU.csdata,"",@progbits
; Kernel info:
; codeLenInByte = 3968
; NumSgprs: 44
; NumVgprs: 32
; ScratchSize: 0
; MemoryBound: 0
; FloatMode: 240
; IeeeMode: 1
; LDSByteSize: 128 bytes/workgroup (compile time only)
; SGPRBlocks: 5
; VGPRBlocks: 3
; NumSGPRsForWavesPerEU: 44
; NumVGPRsForWavesPerEU: 32
; Occupancy: 16
; WaveLimiterHint : 1
; COMPUTE_PGM_RSRC2:SCRATCH_EN: 0
; COMPUTE_PGM_RSRC2:USER_SGPR: 15
; COMPUTE_PGM_RSRC2:TRAP_HANDLER: 0
; COMPUTE_PGM_RSRC2:TGID_X_EN: 1
; COMPUTE_PGM_RSRC2:TGID_Y_EN: 0
; COMPUTE_PGM_RSRC2:TGID_Z_EN: 0
; COMPUTE_PGM_RSRC2:TIDIG_COMP_CNT: 0
	.section	.text._ZN9rocsparseL16kernel_calculateILi1024ELi64ELb1E21rocsparse_complex_numIfEiiEEvT4_T3_PKS4_S6_PKS3_PKT2_21rocsparse_index_base_S6_S6_S8_S6_S6_S8_S6_PS9_PNS_15floating_traitsIS9_E6data_tEPKSG_,"axG",@progbits,_ZN9rocsparseL16kernel_calculateILi1024ELi64ELb1E21rocsparse_complex_numIfEiiEEvT4_T3_PKS4_S6_PKS3_PKT2_21rocsparse_index_base_S6_S6_S8_S6_S6_S8_S6_PS9_PNS_15floating_traitsIS9_E6data_tEPKSG_,comdat
	.globl	_ZN9rocsparseL16kernel_calculateILi1024ELi64ELb1E21rocsparse_complex_numIfEiiEEvT4_T3_PKS4_S6_PKS3_PKT2_21rocsparse_index_base_S6_S6_S8_S6_S6_S8_S6_PS9_PNS_15floating_traitsIS9_E6data_tEPKSG_ ; -- Begin function _ZN9rocsparseL16kernel_calculateILi1024ELi64ELb1E21rocsparse_complex_numIfEiiEEvT4_T3_PKS4_S6_PKS3_PKT2_21rocsparse_index_base_S6_S6_S8_S6_S6_S8_S6_PS9_PNS_15floating_traitsIS9_E6data_tEPKSG_
	.p2align	8
	.type	_ZN9rocsparseL16kernel_calculateILi1024ELi64ELb1E21rocsparse_complex_numIfEiiEEvT4_T3_PKS4_S6_PKS3_PKT2_21rocsparse_index_base_S6_S6_S8_S6_S6_S8_S6_PS9_PNS_15floating_traitsIS9_E6data_tEPKSG_,@function
_ZN9rocsparseL16kernel_calculateILi1024ELi64ELb1E21rocsparse_complex_numIfEiiEEvT4_T3_PKS4_S6_PKS3_PKT2_21rocsparse_index_base_S6_S6_S8_S6_S6_S8_S6_PS9_PNS_15floating_traitsIS9_E6data_tEPKSG_: ; @_ZN9rocsparseL16kernel_calculateILi1024ELi64ELb1E21rocsparse_complex_numIfEiiEEvT4_T3_PKS4_S6_PKS3_PKT2_21rocsparse_index_base_S6_S6_S8_S6_S6_S8_S6_PS9_PNS_15floating_traitsIS9_E6data_tEPKSG_
; %bb.0:
	s_load_b32 s28, s[0:1], 0x0
	v_lshrrev_b32_e32 v18, 6, v0
	v_and_b32_e32 v19, 63, v0
	v_mov_b32_e32 v21, 0
	s_mov_b32 s29, exec_lo
	s_delay_alu instid0(VALU_DEP_3) | instskip(SKIP_1) | instid1(VALU_DEP_1)
	v_lshl_or_b32 v20, s15, 10, v18
	s_waitcnt lgkmcnt(0)
	v_cmpx_gt_i32_e64 s28, v20
	s_cbranch_execz .LBB44_47
; %bb.1:
	s_clause 0x3
	s_load_b32 s30, s[0:1], 0x28
	s_load_b256 s[4:11], s[0:1], 0x50
	s_load_b256 s[12:19], s[0:1], 0x30
	;; [unrolled: 1-line block ×3, first 2 shown]
	v_mov_b32_e32 v21, 0
	s_mov_b32 s31, 0
	s_waitcnt lgkmcnt(0)
	v_subrev_nc_u32_e32 v22, s30, v19
	s_branch .LBB44_5
.LBB44_2:                               ;   in Loop: Header=BB44_5 Depth=1
	s_or_b32 exec_lo, exec_lo, s35
.LBB44_3:                               ;   in Loop: Header=BB44_5 Depth=1
	s_delay_alu instid0(SALU_CYCLE_1)
	s_or_b32 exec_lo, exec_lo, s34
.LBB44_4:                               ;   in Loop: Header=BB44_5 Depth=1
	s_delay_alu instid0(SALU_CYCLE_1) | instskip(SKIP_1) | instid1(SALU_CYCLE_1)
	s_or_b32 exec_lo, exec_lo, s33
	s_add_i32 s31, s31, 1
	s_cmp_lg_u32 s31, 64
	s_cbranch_scc0 .LBB44_47
.LBB44_5:                               ; =>This Loop Header: Depth=1
                                        ;     Child Loop BB44_9 Depth 2
                                        ;       Child Loop BB44_12 Depth 3
                                        ;       Child Loop BB44_20 Depth 3
                                        ;       Child Loop BB44_28 Depth 3
	v_lshl_add_u32 v1, s31, 4, v20
	s_mov_b32 s33, exec_lo
	s_delay_alu instid0(VALU_DEP_1)
	v_cmpx_gt_i32_e64 s28, v1
	s_cbranch_execz .LBB44_4
; %bb.6:                                ;   in Loop: Header=BB44_5 Depth=1
	v_ashrrev_i32_e32 v2, 31, v1
	s_mov_b32 s34, exec_lo
	s_delay_alu instid0(VALU_DEP_1) | instskip(NEXT) | instid1(VALU_DEP_1)
	v_lshlrev_b64 v[3:4], 2, v[1:2]
	v_add_co_u32 v5, vcc_lo, s22, v3
	s_delay_alu instid0(VALU_DEP_2)
	v_add_co_ci_u32_e32 v6, vcc_lo, s23, v4, vcc_lo
	v_add_co_u32 v7, vcc_lo, s20, v3
	v_add_co_ci_u32_e32 v8, vcc_lo, s21, v4, vcc_lo
	global_load_b32 v2, v[5:6], off
	global_load_b32 v5, v[7:8], off
	s_waitcnt vmcnt(1)
	v_subrev_nc_u32_e32 v23, s30, v2
	s_waitcnt vmcnt(0)
	v_add_nc_u32_e32 v2, v22, v5
	s_delay_alu instid0(VALU_DEP_1)
	v_cmpx_lt_i32_e64 v2, v23
	s_cbranch_execz .LBB44_3
; %bb.7:                                ;   in Loop: Header=BB44_5 Depth=1
	v_add_co_u32 v5, vcc_lo, s14, v3
	v_add_co_ci_u32_e32 v6, vcc_lo, s15, v4, vcc_lo
	v_add_co_u32 v3, vcc_lo, s12, v3
	v_add_co_ci_u32_e32 v4, vcc_lo, s13, v4, vcc_lo
	s_mov_b32 s35, 0
	global_load_b32 v5, v[5:6], off
	global_load_b32 v3, v[3:4], off
	s_waitcnt vmcnt(1)
	v_subrev_nc_u32_e32 v24, s30, v5
	s_waitcnt vmcnt(0)
	v_subrev_nc_u32_e32 v25, s30, v3
	v_cmp_lt_i32_e64 s2, v3, v5
	s_branch .LBB44_9
.LBB44_8:                               ;   in Loop: Header=BB44_9 Depth=2
	s_or_b32 exec_lo, exec_lo, s3
	v_cmp_nlg_f32_e64 s36, 0x7f800000, |v7|
	v_cmp_gt_f32_e32 vcc_lo, v21, v7
	s_delay_alu instid0(VALU_DEP_2) | instskip(SKIP_1) | instid1(VALU_DEP_1)
	s_or_b32 vcc_lo, s36, vcc_lo
	v_dual_cndmask_b32 v21, v7, v21 :: v_dual_add_nc_u32 v2, 64, v2
	v_cmp_ge_i32_e64 s3, v2, v23
	s_delay_alu instid0(VALU_DEP_1) | instskip(NEXT) | instid1(SALU_CYCLE_1)
	s_or_b32 s35, s3, s35
	s_and_not1_b32 exec_lo, exec_lo, s35
	s_cbranch_execz .LBB44_2
.LBB44_9:                               ;   Parent Loop BB44_5 Depth=1
                                        ; =>  This Loop Header: Depth=2
                                        ;       Child Loop BB44_12 Depth 3
                                        ;       Child Loop BB44_20 Depth 3
	;; [unrolled: 1-line block ×3, first 2 shown]
	v_ashrrev_i32_e32 v3, 31, v2
	v_dual_mov_b32 v16, 0 :: v_dual_mov_b32 v17, 0
	s_delay_alu instid0(VALU_DEP_2) | instskip(NEXT) | instid1(VALU_DEP_1)
	v_lshlrev_b64 v[4:5], 2, v[2:3]
	v_add_co_u32 v4, vcc_lo, s24, v4
	s_delay_alu instid0(VALU_DEP_2) | instskip(SKIP_4) | instid1(VALU_DEP_1)
	v_add_co_ci_u32_e32 v5, vcc_lo, s25, v5, vcc_lo
	global_load_b32 v26, v[4:5], off
	v_lshlrev_b64 v[3:4], 3, v[2:3]
	s_waitcnt vmcnt(0)
	v_subrev_nc_u32_e32 v7, s30, v26
	v_ashrrev_i32_e32 v8, 31, v7
	s_delay_alu instid0(VALU_DEP_1) | instskip(NEXT) | instid1(VALU_DEP_1)
	v_lshlrev_b64 v[5:6], 2, v[7:8]
	v_add_co_u32 v8, vcc_lo, s14, v5
	s_delay_alu instid0(VALU_DEP_2)
	v_add_co_ci_u32_e32 v9, vcc_lo, s15, v6, vcc_lo
	v_add_co_u32 v10, vcc_lo, s4, v5
	v_add_co_ci_u32_e32 v11, vcc_lo, s5, v6, vcc_lo
	global_load_b32 v8, v[8:9], off
	v_add_co_u32 v5, vcc_lo, s18, v5
	v_add_co_ci_u32_e32 v6, vcc_lo, s19, v6, vcc_lo
	v_add_co_u32 v12, vcc_lo, s26, v3
	v_add_co_ci_u32_e32 v13, vcc_lo, s27, v4, vcc_lo
	global_load_b32 v10, v[10:11], off
	global_load_b32 v11, v[5:6], off
	s_waitcnt vmcnt(2)
	v_subrev_nc_u32_e32 v8, s30, v8
	s_delay_alu instid0(VALU_DEP_1) | instskip(SKIP_2) | instid1(VALU_DEP_2)
	v_ashrrev_i32_e32 v9, 31, v8
	s_waitcnt vmcnt(1)
	v_subrev_nc_u32_e32 v29, s30, v10
	v_lshlrev_b64 v[8:9], 3, v[8:9]
	s_delay_alu instid0(VALU_DEP_1) | instskip(NEXT) | instid1(VALU_DEP_2)
	v_add_co_u32 v5, vcc_lo, s10, v8
	v_add_co_ci_u32_e32 v6, vcc_lo, s11, v9, vcc_lo
	s_waitcnt vmcnt(0)
	v_cmp_lt_i32_e32 vcc_lo, v11, v10
	global_load_b64 v[14:15], v[12:13], off
	global_load_b64 v[8:9], v[5:6], off
	v_subrev_nc_u32_e32 v12, s30, v11
	v_mov_b32_e32 v10, v25
	s_and_b32 s3, s2, vcc_lo
	s_delay_alu instid0(SALU_CYCLE_1)
	s_and_saveexec_b32 s36, s3
	s_cbranch_execz .LBB44_15
; %bb.10:                               ;   in Loop: Header=BB44_9 Depth=2
	v_dual_mov_b32 v16, 0 :: v_dual_mov_b32 v17, 0
	v_mov_b32_e32 v10, v25
	s_mov_b32 s37, 0
	s_branch .LBB44_12
.LBB44_11:                              ;   in Loop: Header=BB44_12 Depth=3
	s_or_b32 exec_lo, exec_lo, s3
	v_cmp_le_i32_e32 vcc_lo, v13, v27
	v_add_co_ci_u32_e32 v10, vcc_lo, 0, v10, vcc_lo
	v_cmp_ge_i32_e32 vcc_lo, v13, v27
	v_add_co_ci_u32_e32 v12, vcc_lo, 0, v12, vcc_lo
	s_delay_alu instid0(VALU_DEP_3) | instskip(NEXT) | instid1(VALU_DEP_2)
	v_cmp_ge_i32_e32 vcc_lo, v10, v24
	v_cmp_ge_i32_e64 s3, v12, v29
	s_delay_alu instid0(VALU_DEP_1) | instskip(NEXT) | instid1(SALU_CYCLE_1)
	s_or_b32 s3, vcc_lo, s3
	s_and_b32 s3, exec_lo, s3
	s_delay_alu instid0(SALU_CYCLE_1) | instskip(NEXT) | instid1(SALU_CYCLE_1)
	s_or_b32 s37, s3, s37
	s_and_not1_b32 exec_lo, exec_lo, s37
	s_cbranch_execz .LBB44_14
.LBB44_12:                              ;   Parent Loop BB44_5 Depth=1
                                        ;     Parent Loop BB44_9 Depth=2
                                        ; =>    This Inner Loop Header: Depth=3
	s_delay_alu instid0(VALU_DEP_1) | instskip(SKIP_2) | instid1(VALU_DEP_2)
	v_ashrrev_i32_e32 v11, 31, v10
	v_ashrrev_i32_e32 v13, 31, v12
	s_mov_b32 s3, exec_lo
	v_lshlrev_b64 v[27:28], 2, v[10:11]
	s_delay_alu instid0(VALU_DEP_2) | instskip(NEXT) | instid1(VALU_DEP_2)
	v_lshlrev_b64 v[5:6], 2, v[12:13]
	v_add_co_u32 v27, vcc_lo, s16, v27
	s_delay_alu instid0(VALU_DEP_3) | instskip(NEXT) | instid1(VALU_DEP_3)
	v_add_co_ci_u32_e32 v28, vcc_lo, s17, v28, vcc_lo
	v_add_co_u32 v30, vcc_lo, s6, v5
	s_delay_alu instid0(VALU_DEP_4)
	v_add_co_ci_u32_e32 v31, vcc_lo, s7, v6, vcc_lo
	global_load_b32 v13, v[27:28], off
	global_load_b32 v27, v[30:31], off
	s_waitcnt vmcnt(0)
	v_cmpx_eq_u32_e64 v13, v27
	s_cbranch_execz .LBB44_11
; %bb.13:                               ;   in Loop: Header=BB44_12 Depth=3
	v_add_co_u32 v5, vcc_lo, s8, v5
	v_add_co_ci_u32_e32 v6, vcc_lo, s9, v6, vcc_lo
	v_lshlrev_b64 v[30:31], 3, v[10:11]
	global_load_b32 v5, v[5:6], off
	v_add_co_u32 v30, vcc_lo, s10, v30
	v_add_co_ci_u32_e32 v31, vcc_lo, s11, v31, vcc_lo
	s_waitcnt vmcnt(0)
	v_ashrrev_i32_e32 v6, 31, v5
	s_delay_alu instid0(VALU_DEP_1) | instskip(NEXT) | instid1(VALU_DEP_1)
	v_lshlrev_b64 v[5:6], 3, v[5:6]
	v_add_co_u32 v5, vcc_lo, s10, v5
	s_delay_alu instid0(VALU_DEP_2)
	v_add_co_ci_u32_e32 v6, vcc_lo, s11, v6, vcc_lo
	s_clause 0x1
	global_load_b64 v[30:31], v[30:31], off
	global_load_b64 v[5:6], v[5:6], off
	s_waitcnt vmcnt(0)
	v_fmac_f32_e32 v16, v30, v5
	v_fmac_f32_e32 v17, v31, v5
	s_delay_alu instid0(VALU_DEP_2) | instskip(NEXT) | instid1(VALU_DEP_2)
	v_fma_f32 v16, -v31, v6, v16
	v_fmac_f32_e32 v17, v30, v6
	s_branch .LBB44_11
.LBB44_14:                              ;   in Loop: Header=BB44_9 Depth=2
	s_or_b32 exec_lo, exec_lo, s37
.LBB44_15:                              ;   in Loop: Header=BB44_9 Depth=2
	s_delay_alu instid0(SALU_CYCLE_1)
	s_or_b32 exec_lo, exec_lo, s36
	s_waitcnt vmcnt(1)
	v_dual_sub_f32 v5, v14, v16 :: v_dual_sub_f32 v6, v15, v17
	s_mov_b32 s3, exec_lo
	v_cmpx_gt_i32_e64 v1, v7
	s_cbranch_execz .LBB44_17
; %bb.16:                               ;   in Loop: Header=BB44_9 Depth=2
	s_waitcnt vmcnt(0)
	v_mul_f32_e32 v11, v9, v9
	s_delay_alu instid0(VALU_DEP_1) | instskip(NEXT) | instid1(VALU_DEP_1)
	v_fmac_f32_e32 v11, v8, v8
	v_div_scale_f32 v13, null, v11, v11, 1.0
	v_div_scale_f32 v30, vcc_lo, 1.0, v11, 1.0
	s_delay_alu instid0(VALU_DEP_2) | instskip(SKIP_2) | instid1(VALU_DEP_1)
	v_rcp_f32_e32 v27, v13
	s_waitcnt_depctr 0xfff
	v_fma_f32 v28, -v13, v27, 1.0
	v_fmac_f32_e32 v27, v28, v27
	s_delay_alu instid0(VALU_DEP_1) | instskip(NEXT) | instid1(VALU_DEP_1)
	v_mul_f32_e32 v28, v30, v27
	v_fma_f32 v31, -v13, v28, v30
	s_delay_alu instid0(VALU_DEP_1) | instskip(NEXT) | instid1(VALU_DEP_1)
	v_fmac_f32_e32 v28, v31, v27
	v_fma_f32 v13, -v13, v28, v30
	s_delay_alu instid0(VALU_DEP_1) | instskip(SKIP_1) | instid1(VALU_DEP_2)
	v_div_fmas_f32 v13, v13, v27, v28
	v_mul_f32_e64 v28, v9, -v5
	v_div_fixup_f32 v11, v13, v11, 1.0
	s_delay_alu instid0(VALU_DEP_2) | instskip(NEXT) | instid1(VALU_DEP_1)
	v_dual_fmac_f32 v28, v6, v8 :: v_dual_mul_f32 v27, v9, v6
	v_mul_f32_e32 v6, v11, v28
	s_delay_alu instid0(VALU_DEP_2) | instskip(NEXT) | instid1(VALU_DEP_1)
	v_fmac_f32_e32 v27, v5, v8
	v_mul_f32_e32 v5, v11, v27
.LBB44_17:                              ;   in Loop: Header=BB44_9 Depth=2
	s_or_b32 exec_lo, exec_lo, s3
	v_dual_sub_f32 v27, v16, v14 :: v_dual_sub_f32 v28, v17, v15
	s_mov_b32 s36, exec_lo
	v_cmpx_lt_i32_e64 v12, v29
	s_cbranch_execz .LBB44_25
; %bb.18:                               ;   in Loop: Header=BB44_9 Depth=2
	v_ashrrev_i32_e32 v13, 31, v12
	s_mov_b32 s38, 0
                                        ; implicit-def: $sgpr37
                                        ; implicit-def: $sgpr40
                                        ; implicit-def: $sgpr39
	s_delay_alu instid0(VALU_DEP_1) | instskip(NEXT) | instid1(VALU_DEP_1)
	v_lshlrev_b64 v[14:15], 2, v[12:13]
	v_add_co_u32 v14, vcc_lo, s6, v14
	s_delay_alu instid0(VALU_DEP_2)
	v_add_co_ci_u32_e32 v15, vcc_lo, s7, v15, vcc_lo
	s_set_inst_prefetch_distance 0x1
	s_branch .LBB44_20
	.p2align	6
.LBB44_19:                              ;   in Loop: Header=BB44_20 Depth=3
	s_or_b32 exec_lo, exec_lo, s41
	s_delay_alu instid0(SALU_CYCLE_1) | instskip(NEXT) | instid1(SALU_CYCLE_1)
	s_and_b32 s3, exec_lo, s40
	s_or_b32 s38, s3, s38
	s_and_not1_b32 s3, s37, exec_lo
	s_and_b32 s37, s39, exec_lo
	s_delay_alu instid0(SALU_CYCLE_1)
	s_or_b32 s37, s3, s37
	s_and_not1_b32 exec_lo, exec_lo, s38
	s_cbranch_execz .LBB44_22
.LBB44_20:                              ;   Parent Loop BB44_5 Depth=1
                                        ;     Parent Loop BB44_9 Depth=2
                                        ; =>    This Inner Loop Header: Depth=3
	global_load_b32 v11, v[14:15], off
	v_dual_mov_b32 v17, v13 :: v_dual_mov_b32 v16, v12
	s_or_b32 s39, s39, exec_lo
	s_or_b32 s40, s40, exec_lo
	s_mov_b32 s41, exec_lo
                                        ; implicit-def: $vgpr12_vgpr13
	s_waitcnt vmcnt(0)
	v_subrev_nc_u32_e32 v11, s30, v11
	s_delay_alu instid0(VALU_DEP_1)
	v_cmpx_ne_u32_e64 v11, v1
	s_cbranch_execz .LBB44_19
; %bb.21:                               ;   in Loop: Header=BB44_20 Depth=3
	v_add_co_u32 v12, vcc_lo, v16, 1
	v_add_co_ci_u32_e32 v13, vcc_lo, 0, v17, vcc_lo
	v_add_co_u32 v14, s3, v14, 4
	s_delay_alu instid0(VALU_DEP_3) | instskip(SKIP_4) | instid1(SALU_CYCLE_1)
	v_cmp_ge_i32_e32 vcc_lo, v12, v29
	v_add_co_ci_u32_e64 v15, s3, 0, v15, s3
	s_and_not1_b32 s3, s40, exec_lo
	s_and_not1_b32 s39, s39, exec_lo
	s_and_b32 s40, vcc_lo, exec_lo
	s_or_b32 s40, s3, s40
	s_branch .LBB44_19
.LBB44_22:                              ;   in Loop: Header=BB44_9 Depth=2
	s_set_inst_prefetch_distance 0x2
	s_or_b32 exec_lo, exec_lo, s38
	s_and_saveexec_b32 s3, s37
	s_delay_alu instid0(SALU_CYCLE_1)
	s_xor_b32 s3, exec_lo, s3
	s_cbranch_execz .LBB44_24
; %bb.23:                               ;   in Loop: Header=BB44_9 Depth=2
	v_lshlrev_b64 v[11:12], 2, v[16:17]
	s_delay_alu instid0(VALU_DEP_1) | instskip(NEXT) | instid1(VALU_DEP_2)
	v_add_co_u32 v11, vcc_lo, s8, v11
	v_add_co_ci_u32_e32 v12, vcc_lo, s9, v12, vcc_lo
	global_load_b32 v11, v[11:12], off
	s_waitcnt vmcnt(0)
	v_ashrrev_i32_e32 v12, 31, v11
	s_delay_alu instid0(VALU_DEP_1) | instskip(NEXT) | instid1(VALU_DEP_1)
	v_lshlrev_b64 v[11:12], 3, v[11:12]
	v_add_co_u32 v11, vcc_lo, s10, v11
	s_delay_alu instid0(VALU_DEP_2)
	v_add_co_ci_u32_e32 v12, vcc_lo, s11, v12, vcc_lo
	global_load_b64 v[11:12], v[11:12], off
	s_waitcnt vmcnt(0)
	v_dual_add_f32 v27, v27, v11 :: v_dual_add_f32 v28, v28, v12
.LBB44_24:                              ;   in Loop: Header=BB44_9 Depth=2
	s_or_b32 exec_lo, exec_lo, s3
.LBB44_25:                              ;   in Loop: Header=BB44_9 Depth=2
	s_delay_alu instid0(SALU_CYCLE_1) | instskip(NEXT) | instid1(SALU_CYCLE_1)
	s_or_b32 exec_lo, exec_lo, s36
	s_mov_b32 s36, exec_lo
	v_cmpx_lt_i32_e64 v10, v24
	s_cbranch_execz .LBB44_33
; %bb.26:                               ;   in Loop: Header=BB44_9 Depth=2
	v_ashrrev_i32_e32 v11, 31, v10
	s_mov_b32 s38, 0
                                        ; implicit-def: $sgpr37
                                        ; implicit-def: $sgpr40
                                        ; implicit-def: $sgpr39
	s_delay_alu instid0(VALU_DEP_1) | instskip(NEXT) | instid1(VALU_DEP_1)
	v_lshlrev_b64 v[12:13], 2, v[10:11]
	v_add_co_u32 v12, vcc_lo, s16, v12
	s_delay_alu instid0(VALU_DEP_2)
	v_add_co_ci_u32_e32 v13, vcc_lo, s17, v13, vcc_lo
	s_set_inst_prefetch_distance 0x1
	s_branch .LBB44_28
	.p2align	6
.LBB44_27:                              ;   in Loop: Header=BB44_28 Depth=3
	s_or_b32 exec_lo, exec_lo, s41
	s_delay_alu instid0(SALU_CYCLE_1) | instskip(NEXT) | instid1(SALU_CYCLE_1)
	s_and_b32 s3, exec_lo, s40
	s_or_b32 s38, s3, s38
	s_and_not1_b32 s3, s37, exec_lo
	s_and_b32 s37, s39, exec_lo
	s_delay_alu instid0(SALU_CYCLE_1)
	s_or_b32 s37, s3, s37
	s_and_not1_b32 exec_lo, exec_lo, s38
	s_cbranch_execz .LBB44_30
.LBB44_28:                              ;   Parent Loop BB44_5 Depth=1
                                        ;     Parent Loop BB44_9 Depth=2
                                        ; =>    This Inner Loop Header: Depth=3
	global_load_b32 v16, v[12:13], off
	v_dual_mov_b32 v15, v11 :: v_dual_mov_b32 v14, v10
	s_or_b32 s39, s39, exec_lo
	s_or_b32 s40, s40, exec_lo
	s_mov_b32 s41, exec_lo
                                        ; implicit-def: $vgpr10_vgpr11
	s_waitcnt vmcnt(0)
	v_cmpx_ne_u32_e64 v16, v26
	s_cbranch_execz .LBB44_27
; %bb.29:                               ;   in Loop: Header=BB44_28 Depth=3
	v_add_co_u32 v10, vcc_lo, v14, 1
	v_add_co_ci_u32_e32 v11, vcc_lo, 0, v15, vcc_lo
	v_add_co_u32 v12, s3, v12, 4
	s_delay_alu instid0(VALU_DEP_3) | instskip(SKIP_4) | instid1(SALU_CYCLE_1)
	v_cmp_ge_i32_e32 vcc_lo, v10, v24
	v_add_co_ci_u32_e64 v13, s3, 0, v13, s3
	s_and_not1_b32 s3, s40, exec_lo
	s_and_not1_b32 s39, s39, exec_lo
	s_and_b32 s40, vcc_lo, exec_lo
	s_or_b32 s40, s3, s40
	s_branch .LBB44_27
.LBB44_30:                              ;   in Loop: Header=BB44_9 Depth=2
	s_set_inst_prefetch_distance 0x2
	s_or_b32 exec_lo, exec_lo, s38
	s_and_saveexec_b32 s3, s37
	s_delay_alu instid0(SALU_CYCLE_1)
	s_xor_b32 s3, exec_lo, s3
	s_cbranch_execz .LBB44_32
; %bb.31:                               ;   in Loop: Header=BB44_9 Depth=2
	v_lshlrev_b64 v[10:11], 3, v[14:15]
	s_delay_alu instid0(VALU_DEP_1) | instskip(NEXT) | instid1(VALU_DEP_2)
	v_add_co_u32 v10, vcc_lo, s10, v10
	v_add_co_ci_u32_e32 v11, vcc_lo, s11, v11, vcc_lo
	global_load_b64 v[10:11], v[10:11], off
	s_waitcnt vmcnt(0)
	v_fmac_f32_e32 v27, v10, v8
	v_fmac_f32_e32 v28, v11, v8
	s_delay_alu instid0(VALU_DEP_2) | instskip(NEXT) | instid1(VALU_DEP_2)
	v_fma_f32 v27, -v11, v9, v27
	v_fmac_f32_e32 v28, v10, v9
.LBB44_32:                              ;   in Loop: Header=BB44_9 Depth=2
	s_or_b32 exec_lo, exec_lo, s3
.LBB44_33:                              ;   in Loop: Header=BB44_9 Depth=2
	s_delay_alu instid0(SALU_CYCLE_1) | instskip(SKIP_1) | instid1(VALU_DEP_1)
	s_or_b32 exec_lo, exec_lo, s36
	s_waitcnt vmcnt(0)
	v_dual_add_f32 v8, v8, v27 :: v_dual_add_f32 v9, v9, v28
	v_cmp_eq_u32_e32 vcc_lo, v1, v7
	s_mov_b32 s3, exec_lo
	s_delay_alu instid0(VALU_DEP_2) | instskip(NEXT) | instid1(VALU_DEP_1)
	v_dual_cndmask_b32 v10, v28, v9 :: v_dual_cndmask_b32 v7, v27, v8
	v_cmp_gt_f32_e32 vcc_lo, 0, v7
	v_cndmask_b32_e64 v8, v7, -v7, vcc_lo
	s_delay_alu instid0(VALU_DEP_3) | instskip(SKIP_1) | instid1(VALU_DEP_1)
	v_cmp_gt_f32_e32 vcc_lo, 0, v10
                                        ; implicit-def: $vgpr7
	v_cndmask_b32_e64 v9, v10, -v10, vcc_lo
	v_cmpx_ngt_f32_e32 v8, v9
	s_xor_b32 s36, exec_lo, s3
	s_cbranch_execz .LBB44_37
; %bb.34:                               ;   in Loop: Header=BB44_9 Depth=2
	v_mov_b32_e32 v7, 0
	s_mov_b32 s37, exec_lo
	v_cmpx_neq_f32_e32 0, v10
	s_cbranch_execz .LBB44_36
; %bb.35:                               ;   in Loop: Header=BB44_9 Depth=2
	v_div_scale_f32 v7, null, v9, v9, v8
	v_div_scale_f32 v12, vcc_lo, v8, v9, v8
	s_delay_alu instid0(VALU_DEP_2) | instskip(SKIP_2) | instid1(VALU_DEP_1)
	v_rcp_f32_e32 v10, v7
	s_waitcnt_depctr 0xfff
	v_fma_f32 v11, -v7, v10, 1.0
	v_fmac_f32_e32 v10, v11, v10
	s_delay_alu instid0(VALU_DEP_1) | instskip(NEXT) | instid1(VALU_DEP_1)
	v_mul_f32_e32 v11, v12, v10
	v_fma_f32 v13, -v7, v11, v12
	s_delay_alu instid0(VALU_DEP_1) | instskip(NEXT) | instid1(VALU_DEP_1)
	v_fmac_f32_e32 v11, v13, v10
	v_fma_f32 v7, -v7, v11, v12
	s_delay_alu instid0(VALU_DEP_1) | instskip(NEXT) | instid1(VALU_DEP_1)
	v_div_fmas_f32 v7, v7, v10, v11
	v_div_fixup_f32 v7, v7, v9, v8
	s_delay_alu instid0(VALU_DEP_1) | instskip(NEXT) | instid1(VALU_DEP_1)
	v_fma_f32 v7, v7, v7, 1.0
	v_mul_f32_e32 v8, 0x4f800000, v7
	v_cmp_gt_f32_e32 vcc_lo, 0xf800000, v7
	s_delay_alu instid0(VALU_DEP_2) | instskip(NEXT) | instid1(VALU_DEP_1)
	v_cndmask_b32_e32 v7, v7, v8, vcc_lo
	v_sqrt_f32_e32 v8, v7
	s_waitcnt_depctr 0xfff
	v_add_nc_u32_e32 v10, -1, v8
	v_add_nc_u32_e32 v11, 1, v8
	s_delay_alu instid0(VALU_DEP_2) | instskip(NEXT) | instid1(VALU_DEP_2)
	v_fma_f32 v12, -v10, v8, v7
	v_fma_f32 v13, -v11, v8, v7
	s_delay_alu instid0(VALU_DEP_2) | instskip(NEXT) | instid1(VALU_DEP_1)
	v_cmp_ge_f32_e64 s3, 0, v12
	v_cndmask_b32_e64 v8, v8, v10, s3
	s_delay_alu instid0(VALU_DEP_3) | instskip(NEXT) | instid1(VALU_DEP_1)
	v_cmp_lt_f32_e64 s3, 0, v13
	v_cndmask_b32_e64 v8, v8, v11, s3
	s_delay_alu instid0(VALU_DEP_1) | instskip(NEXT) | instid1(VALU_DEP_1)
	v_mul_f32_e32 v10, 0x37800000, v8
	v_cndmask_b32_e32 v8, v8, v10, vcc_lo
	v_cmp_class_f32_e64 vcc_lo, v7, 0x260
	s_delay_alu instid0(VALU_DEP_2) | instskip(NEXT) | instid1(VALU_DEP_1)
	v_cndmask_b32_e32 v7, v8, v7, vcc_lo
	v_mul_f32_e32 v7, v9, v7
.LBB44_36:                              ;   in Loop: Header=BB44_9 Depth=2
	s_or_b32 exec_lo, exec_lo, s37
                                        ; implicit-def: $vgpr8
                                        ; implicit-def: $vgpr9
.LBB44_37:                              ;   in Loop: Header=BB44_9 Depth=2
	s_and_not1_saveexec_b32 s36, s36
	s_cbranch_execz .LBB44_39
; %bb.38:                               ;   in Loop: Header=BB44_9 Depth=2
	v_div_scale_f32 v7, null, v8, v8, v9
	v_div_scale_f32 v12, vcc_lo, v9, v8, v9
	s_delay_alu instid0(VALU_DEP_2) | instskip(SKIP_2) | instid1(VALU_DEP_1)
	v_rcp_f32_e32 v10, v7
	s_waitcnt_depctr 0xfff
	v_fma_f32 v11, -v7, v10, 1.0
	v_fmac_f32_e32 v10, v11, v10
	s_delay_alu instid0(VALU_DEP_1) | instskip(NEXT) | instid1(VALU_DEP_1)
	v_mul_f32_e32 v11, v12, v10
	v_fma_f32 v13, -v7, v11, v12
	s_delay_alu instid0(VALU_DEP_1) | instskip(NEXT) | instid1(VALU_DEP_1)
	v_fmac_f32_e32 v11, v13, v10
	v_fma_f32 v7, -v7, v11, v12
	s_delay_alu instid0(VALU_DEP_1) | instskip(NEXT) | instid1(VALU_DEP_1)
	v_div_fmas_f32 v7, v7, v10, v11
	v_div_fixup_f32 v7, v7, v8, v9
	s_delay_alu instid0(VALU_DEP_1) | instskip(NEXT) | instid1(VALU_DEP_1)
	v_fma_f32 v7, v7, v7, 1.0
	v_mul_f32_e32 v9, 0x4f800000, v7
	v_cmp_gt_f32_e32 vcc_lo, 0xf800000, v7
	s_delay_alu instid0(VALU_DEP_2) | instskip(NEXT) | instid1(VALU_DEP_1)
	v_cndmask_b32_e32 v7, v7, v9, vcc_lo
	v_sqrt_f32_e32 v9, v7
	s_waitcnt_depctr 0xfff
	v_add_nc_u32_e32 v10, -1, v9
	v_add_nc_u32_e32 v11, 1, v9
	s_delay_alu instid0(VALU_DEP_2) | instskip(NEXT) | instid1(VALU_DEP_2)
	v_fma_f32 v12, -v10, v9, v7
	v_fma_f32 v13, -v11, v9, v7
	s_delay_alu instid0(VALU_DEP_2) | instskip(NEXT) | instid1(VALU_DEP_1)
	v_cmp_ge_f32_e64 s3, 0, v12
	v_cndmask_b32_e64 v9, v9, v10, s3
	s_delay_alu instid0(VALU_DEP_3) | instskip(NEXT) | instid1(VALU_DEP_1)
	v_cmp_lt_f32_e64 s3, 0, v13
	v_cndmask_b32_e64 v9, v9, v11, s3
	s_delay_alu instid0(VALU_DEP_1) | instskip(NEXT) | instid1(VALU_DEP_1)
	v_mul_f32_e32 v10, 0x37800000, v9
	v_cndmask_b32_e32 v9, v9, v10, vcc_lo
	v_cmp_class_f32_e64 vcc_lo, v7, 0x260
	s_delay_alu instid0(VALU_DEP_2) | instskip(NEXT) | instid1(VALU_DEP_1)
	v_cndmask_b32_e32 v7, v9, v7, vcc_lo
	v_mul_f32_e32 v7, v8, v7
.LBB44_39:                              ;   in Loop: Header=BB44_9 Depth=2
	s_or_b32 exec_lo, exec_lo, s36
	v_cmp_gt_f32_e32 vcc_lo, 0, v5
                                        ; implicit-def: $vgpr10
	s_mov_b32 s3, exec_lo
	v_cndmask_b32_e64 v8, v5, -v5, vcc_lo
	v_cmp_gt_f32_e32 vcc_lo, 0, v6
	v_cndmask_b32_e64 v9, v6, -v6, vcc_lo
	s_delay_alu instid0(VALU_DEP_1)
	v_cmpx_ngt_f32_e32 v8, v9
	s_xor_b32 s36, exec_lo, s3
	s_cbranch_execnz .LBB44_42
; %bb.40:                               ;   in Loop: Header=BB44_9 Depth=2
	s_and_not1_saveexec_b32 s36, s36
	s_cbranch_execnz .LBB44_45
.LBB44_41:                              ;   in Loop: Header=BB44_9 Depth=2
	s_or_b32 exec_lo, exec_lo, s36
	v_cmp_class_f32_e64 s36, v10, 0x1f8
	s_delay_alu instid0(VALU_DEP_1)
	s_and_saveexec_b32 s3, s36
	s_cbranch_execz .LBB44_8
	s_branch .LBB44_46
.LBB44_42:                              ;   in Loop: Header=BB44_9 Depth=2
	v_mov_b32_e32 v10, 0
	s_mov_b32 s37, exec_lo
	v_cmpx_neq_f32_e32 0, v6
	s_cbranch_execz .LBB44_44
; %bb.43:                               ;   in Loop: Header=BB44_9 Depth=2
	v_div_scale_f32 v10, null, v9, v9, v8
	v_div_scale_f32 v13, vcc_lo, v8, v9, v8
	s_delay_alu instid0(VALU_DEP_2) | instskip(SKIP_2) | instid1(VALU_DEP_1)
	v_rcp_f32_e32 v11, v10
	s_waitcnt_depctr 0xfff
	v_fma_f32 v12, -v10, v11, 1.0
	v_fmac_f32_e32 v11, v12, v11
	s_delay_alu instid0(VALU_DEP_1) | instskip(NEXT) | instid1(VALU_DEP_1)
	v_mul_f32_e32 v12, v13, v11
	v_fma_f32 v14, -v10, v12, v13
	s_delay_alu instid0(VALU_DEP_1) | instskip(NEXT) | instid1(VALU_DEP_1)
	v_fmac_f32_e32 v12, v14, v11
	v_fma_f32 v10, -v10, v12, v13
	s_delay_alu instid0(VALU_DEP_1) | instskip(NEXT) | instid1(VALU_DEP_1)
	v_div_fmas_f32 v10, v10, v11, v12
	v_div_fixup_f32 v8, v10, v9, v8
	s_delay_alu instid0(VALU_DEP_1) | instskip(NEXT) | instid1(VALU_DEP_1)
	v_fma_f32 v8, v8, v8, 1.0
	v_mul_f32_e32 v10, 0x4f800000, v8
	v_cmp_gt_f32_e32 vcc_lo, 0xf800000, v8
	s_delay_alu instid0(VALU_DEP_2) | instskip(NEXT) | instid1(VALU_DEP_1)
	v_cndmask_b32_e32 v8, v8, v10, vcc_lo
	v_sqrt_f32_e32 v10, v8
	s_waitcnt_depctr 0xfff
	v_add_nc_u32_e32 v11, -1, v10
	v_add_nc_u32_e32 v12, 1, v10
	s_delay_alu instid0(VALU_DEP_2) | instskip(NEXT) | instid1(VALU_DEP_2)
	v_fma_f32 v13, -v11, v10, v8
	v_fma_f32 v14, -v12, v10, v8
	s_delay_alu instid0(VALU_DEP_2) | instskip(NEXT) | instid1(VALU_DEP_1)
	v_cmp_ge_f32_e64 s3, 0, v13
	v_cndmask_b32_e64 v10, v10, v11, s3
	s_delay_alu instid0(VALU_DEP_3) | instskip(NEXT) | instid1(VALU_DEP_1)
	v_cmp_lt_f32_e64 s3, 0, v14
	v_cndmask_b32_e64 v10, v10, v12, s3
	s_delay_alu instid0(VALU_DEP_1) | instskip(NEXT) | instid1(VALU_DEP_1)
	v_mul_f32_e32 v11, 0x37800000, v10
	v_cndmask_b32_e32 v10, v10, v11, vcc_lo
	v_cmp_class_f32_e64 vcc_lo, v8, 0x260
	s_delay_alu instid0(VALU_DEP_2) | instskip(NEXT) | instid1(VALU_DEP_1)
	v_cndmask_b32_e32 v8, v10, v8, vcc_lo
	v_mul_f32_e32 v10, v9, v8
.LBB44_44:                              ;   in Loop: Header=BB44_9 Depth=2
	s_or_b32 exec_lo, exec_lo, s37
                                        ; implicit-def: $vgpr8
                                        ; implicit-def: $vgpr9
	s_and_not1_saveexec_b32 s36, s36
	s_cbranch_execz .LBB44_41
.LBB44_45:                              ;   in Loop: Header=BB44_9 Depth=2
	v_div_scale_f32 v10, null, v8, v8, v9
	v_div_scale_f32 v13, vcc_lo, v9, v8, v9
	s_delay_alu instid0(VALU_DEP_2) | instskip(SKIP_2) | instid1(VALU_DEP_1)
	v_rcp_f32_e32 v11, v10
	s_waitcnt_depctr 0xfff
	v_fma_f32 v12, -v10, v11, 1.0
	v_fmac_f32_e32 v11, v12, v11
	s_delay_alu instid0(VALU_DEP_1) | instskip(NEXT) | instid1(VALU_DEP_1)
	v_mul_f32_e32 v12, v13, v11
	v_fma_f32 v14, -v10, v12, v13
	s_delay_alu instid0(VALU_DEP_1) | instskip(NEXT) | instid1(VALU_DEP_1)
	v_fmac_f32_e32 v12, v14, v11
	v_fma_f32 v10, -v10, v12, v13
	s_delay_alu instid0(VALU_DEP_1) | instskip(NEXT) | instid1(VALU_DEP_1)
	v_div_fmas_f32 v10, v10, v11, v12
	v_div_fixup_f32 v9, v10, v8, v9
	s_delay_alu instid0(VALU_DEP_1) | instskip(NEXT) | instid1(VALU_DEP_1)
	v_fma_f32 v9, v9, v9, 1.0
	v_mul_f32_e32 v10, 0x4f800000, v9
	v_cmp_gt_f32_e32 vcc_lo, 0xf800000, v9
	s_delay_alu instid0(VALU_DEP_2) | instskip(NEXT) | instid1(VALU_DEP_1)
	v_cndmask_b32_e32 v9, v9, v10, vcc_lo
	v_sqrt_f32_e32 v10, v9
	s_waitcnt_depctr 0xfff
	v_add_nc_u32_e32 v11, -1, v10
	v_add_nc_u32_e32 v12, 1, v10
	s_delay_alu instid0(VALU_DEP_2) | instskip(NEXT) | instid1(VALU_DEP_2)
	v_fma_f32 v13, -v11, v10, v9
	v_fma_f32 v14, -v12, v10, v9
	s_delay_alu instid0(VALU_DEP_2) | instskip(NEXT) | instid1(VALU_DEP_1)
	v_cmp_ge_f32_e64 s3, 0, v13
	v_cndmask_b32_e64 v10, v10, v11, s3
	s_delay_alu instid0(VALU_DEP_3) | instskip(NEXT) | instid1(VALU_DEP_1)
	v_cmp_lt_f32_e64 s3, 0, v14
	v_cndmask_b32_e64 v10, v10, v12, s3
	s_delay_alu instid0(VALU_DEP_1) | instskip(NEXT) | instid1(VALU_DEP_1)
	v_mul_f32_e32 v11, 0x37800000, v10
	v_cndmask_b32_e32 v10, v10, v11, vcc_lo
	v_cmp_class_f32_e64 vcc_lo, v9, 0x260
	s_delay_alu instid0(VALU_DEP_2) | instskip(NEXT) | instid1(VALU_DEP_1)
	v_cndmask_b32_e32 v9, v10, v9, vcc_lo
	v_mul_f32_e32 v10, v8, v9
	s_or_b32 exec_lo, exec_lo, s36
	s_delay_alu instid0(VALU_DEP_1) | instskip(NEXT) | instid1(VALU_DEP_1)
	v_cmp_class_f32_e64 s36, v10, 0x1f8
	s_and_saveexec_b32 s3, s36
	s_cbranch_execz .LBB44_8
.LBB44_46:                              ;   in Loop: Header=BB44_9 Depth=2
	v_add_co_u32 v3, vcc_lo, s10, v3
	v_add_co_ci_u32_e32 v4, vcc_lo, s11, v4, vcc_lo
	global_store_b64 v[3:4], v[5:6], off
	s_branch .LBB44_8
.LBB44_47:
	s_or_b32 exec_lo, exec_lo, s29
	v_mbcnt_lo_u32_b32 v1, -1, 0
	s_mov_b32 s2, exec_lo
	s_delay_alu instid0(VALU_DEP_1) | instskip(SKIP_2) | instid1(VALU_DEP_3)
	v_or_b32_e32 v2, 32, v1
	v_xor_b32_e32 v3, 16, v1
	v_xor_b32_e32 v4, 8, v1
	v_cmp_gt_i32_e32 vcc_lo, 32, v2
	v_cndmask_b32_e32 v2, v1, v2, vcc_lo
	s_delay_alu instid0(VALU_DEP_4) | instskip(SKIP_1) | instid1(VALU_DEP_1)
	v_cmp_gt_i32_e32 vcc_lo, 32, v3
	v_cndmask_b32_e32 v3, v1, v3, vcc_lo
	v_lshlrev_b32_e32 v3, 2, v3
	s_delay_alu instid0(VALU_DEP_4)
	v_lshlrev_b32_e32 v2, 2, v2
	ds_bpermute_b32 v2, v2, v21
	s_waitcnt lgkmcnt(0)
	v_cmp_lt_f32_e32 vcc_lo, v21, v2
	v_cndmask_b32_e32 v2, v21, v2, vcc_lo
	v_cmp_gt_i32_e32 vcc_lo, 32, v4
	ds_bpermute_b32 v3, v3, v2
	v_cndmask_b32_e32 v4, v1, v4, vcc_lo
	s_delay_alu instid0(VALU_DEP_1)
	v_lshlrev_b32_e32 v4, 2, v4
	s_waitcnt lgkmcnt(0)
	v_cmp_lt_f32_e32 vcc_lo, v2, v3
	v_cndmask_b32_e32 v2, v2, v3, vcc_lo
	ds_bpermute_b32 v3, v4, v2
	v_xor_b32_e32 v4, 4, v1
	s_delay_alu instid0(VALU_DEP_1) | instskip(SKIP_1) | instid1(VALU_DEP_1)
	v_cmp_gt_i32_e32 vcc_lo, 32, v4
	v_cndmask_b32_e32 v4, v1, v4, vcc_lo
	v_lshlrev_b32_e32 v4, 2, v4
	s_waitcnt lgkmcnt(0)
	v_cmp_lt_f32_e32 vcc_lo, v2, v3
	v_cndmask_b32_e32 v2, v2, v3, vcc_lo
	ds_bpermute_b32 v3, v4, v2
	v_xor_b32_e32 v4, 2, v1
	s_delay_alu instid0(VALU_DEP_1) | instskip(SKIP_1) | instid1(VALU_DEP_1)
	v_cmp_gt_i32_e32 vcc_lo, 32, v4
	v_cndmask_b32_e32 v4, v1, v4, vcc_lo
	v_lshlrev_b32_e32 v4, 2, v4
	s_waitcnt lgkmcnt(0)
	v_cmp_lt_f32_e32 vcc_lo, v2, v3
	v_cndmask_b32_e32 v2, v2, v3, vcc_lo
	ds_bpermute_b32 v3, v4, v2
	v_xor_b32_e32 v4, 1, v1
	s_delay_alu instid0(VALU_DEP_1) | instskip(SKIP_3) | instid1(VALU_DEP_2)
	v_cmp_gt_i32_e32 vcc_lo, 32, v4
	v_cndmask_b32_e32 v4, v1, v4, vcc_lo
	s_waitcnt lgkmcnt(0)
	v_cmp_lt_f32_e32 vcc_lo, v2, v3
	v_dual_cndmask_b32 v1, v2, v3 :: v_dual_lshlrev_b32 v2, 2, v4
	ds_bpermute_b32 v2, v2, v1
	v_cmpx_eq_u32_e32 63, v19
	s_cbranch_execz .LBB44_49
; %bb.48:
	s_waitcnt lgkmcnt(0)
	v_cmp_lt_f32_e32 vcc_lo, v1, v2
	v_lshlrev_b32_e32 v3, 2, v18
	v_cndmask_b32_e32 v1, v1, v2, vcc_lo
	ds_store_b32 v3, v1
.LBB44_49:
	s_or_b32 exec_lo, exec_lo, s2
	v_lshlrev_b32_e32 v1, 2, v0
	s_mov_b32 s2, exec_lo
	s_waitcnt lgkmcnt(0)
	s_waitcnt_vscnt null, 0x0
	s_barrier
	buffer_gl0_inv
	v_cmpx_gt_u32_e32 8, v0
	s_cbranch_execz .LBB44_51
; %bb.50:
	ds_load_2addr_b32 v[2:3], v1 offset1:8
	s_waitcnt lgkmcnt(0)
	v_cmp_lt_f32_e32 vcc_lo, v2, v3
	v_cndmask_b32_e32 v2, v2, v3, vcc_lo
	ds_store_b32 v1, v2
.LBB44_51:
	s_or_b32 exec_lo, exec_lo, s2
	s_delay_alu instid0(SALU_CYCLE_1)
	s_mov_b32 s2, exec_lo
	s_waitcnt lgkmcnt(0)
	s_barrier
	buffer_gl0_inv
	v_cmpx_gt_u32_e32 4, v0
	s_cbranch_execz .LBB44_53
; %bb.52:
	ds_load_2addr_b32 v[2:3], v1 offset1:4
	s_waitcnt lgkmcnt(0)
	v_cmp_lt_f32_e32 vcc_lo, v2, v3
	v_cndmask_b32_e32 v2, v2, v3, vcc_lo
	ds_store_b32 v1, v2
.LBB44_53:
	s_or_b32 exec_lo, exec_lo, s2
	s_delay_alu instid0(SALU_CYCLE_1)
	s_mov_b32 s2, exec_lo
	s_waitcnt lgkmcnt(0)
	s_barrier
	buffer_gl0_inv
	v_cmpx_gt_u32_e32 2, v0
	s_cbranch_execz .LBB44_55
; %bb.54:
	ds_load_2addr_b32 v[2:3], v1 offset1:2
	s_waitcnt lgkmcnt(0)
	v_cmp_lt_f32_e32 vcc_lo, v2, v3
	v_cndmask_b32_e32 v2, v2, v3, vcc_lo
	ds_store_b32 v1, v2
.LBB44_55:
	s_or_b32 exec_lo, exec_lo, s2
	v_cmp_eq_u32_e32 vcc_lo, 0, v0
	s_waitcnt lgkmcnt(0)
	s_barrier
	buffer_gl0_inv
	s_and_saveexec_b32 s3, vcc_lo
	s_cbranch_execz .LBB44_57
; %bb.56:
	v_mov_b32_e32 v2, 0
	ds_load_b64 v[0:1], v2
	s_waitcnt lgkmcnt(0)
	v_cmp_lt_f32_e64 s2, v0, v1
	s_delay_alu instid0(VALU_DEP_1)
	v_cndmask_b32_e64 v0, v0, v1, s2
	ds_store_b32 v2, v0
.LBB44_57:
	s_or_b32 exec_lo, exec_lo, s3
	s_waitcnt lgkmcnt(0)
	s_barrier
	buffer_gl0_inv
	s_and_saveexec_b32 s2, vcc_lo
	s_cbranch_execz .LBB44_62
; %bb.58:
	s_load_b128 s[4:7], s[0:1], 0x70
	v_mov_b32_e32 v2, 0
	s_mov_b32 s1, 0
                                        ; implicit-def: $sgpr2
                                        ; implicit-def: $sgpr3
	ds_load_b32 v0, v2
	s_waitcnt lgkmcnt(0)
	s_load_b32 s0, s[6:7], 0x0
	s_waitcnt lgkmcnt(0)
	v_div_scale_f32 v3, null, s0, s0, v0
	v_div_scale_f32 v6, vcc_lo, v0, s0, v0
	s_delay_alu instid0(VALU_DEP_2) | instskip(SKIP_2) | instid1(VALU_DEP_1)
	v_rcp_f32_e32 v4, v3
	s_waitcnt_depctr 0xfff
	v_fma_f32 v5, -v3, v4, 1.0
	v_fmac_f32_e32 v4, v5, v4
	s_delay_alu instid0(VALU_DEP_1) | instskip(SKIP_2) | instid1(VALU_DEP_1)
	v_mul_f32_e32 v5, v6, v4
	global_load_b32 v1, v2, s[4:5] glc
	v_fma_f32 v7, -v3, v5, v6
	v_fmac_f32_e32 v5, v7, v4
	s_delay_alu instid0(VALU_DEP_1) | instskip(NEXT) | instid1(VALU_DEP_1)
	v_fma_f32 v3, -v3, v5, v6
	v_div_fmas_f32 v3, v3, v4, v5
	s_delay_alu instid0(VALU_DEP_1) | instskip(NEXT) | instid1(VALU_DEP_1)
	v_div_fixup_f32 v0, v3, s0, v0
	v_cmp_eq_f32_e32 vcc_lo, 0, v0
	s_waitcnt vmcnt(0)
	v_cmp_eq_u32_e64 s6, 0x80000000, v1
	s_set_inst_prefetch_distance 0x1
	s_branch .LBB44_60
	.p2align	6
.LBB44_59:                              ;   in Loop: Header=BB44_60 Depth=1
	s_or_b32 exec_lo, exec_lo, s7
	s_delay_alu instid0(SALU_CYCLE_1) | instskip(NEXT) | instid1(SALU_CYCLE_1)
	s_and_b32 s0, exec_lo, s2
	s_or_b32 s1, s0, s1
	s_and_not1_b32 s0, s6, exec_lo
	s_and_b32 s6, s3, exec_lo
	s_delay_alu instid0(SALU_CYCLE_1)
	s_or_b32 s6, s0, s6
	s_and_not1_b32 exec_lo, exec_lo, s1
	s_cbranch_execz .LBB44_62
.LBB44_60:                              ; =>This Inner Loop Header: Depth=1
	v_cmp_lt_f32_e64 s0, v1, v0
	s_delay_alu instid0(VALU_DEP_2) | instskip(SKIP_2) | instid1(VALU_DEP_1)
	s_and_b32 s7, vcc_lo, s6
	s_and_not1_b32 s3, s3, exec_lo
	s_or_b32 s2, s2, exec_lo
	s_or_b32 s0, s0, s7
	s_delay_alu instid0(SALU_CYCLE_1)
	s_and_saveexec_b32 s7, s0
	s_cbranch_execz .LBB44_59
; %bb.61:                               ;   in Loop: Header=BB44_60 Depth=1
	global_atomic_cmpswap_b32 v3, v2, v[0:1], s[4:5] glc
	s_and_not1_b32 s3, s3, exec_lo
	s_and_not1_b32 s2, s2, exec_lo
	s_waitcnt vmcnt(0)
	v_cmp_eq_u32_e64 s0, v3, v1
	s_delay_alu instid0(VALU_DEP_1) | instskip(SKIP_1) | instid1(SALU_CYCLE_1)
	v_cndmask_b32_e64 v1, v3, v1, s0
	s_and_b32 s0, s0, exec_lo
	s_or_b32 s2, s2, s0
	s_delay_alu instid0(VALU_DEP_1) | instskip(SKIP_1) | instid1(VALU_DEP_2)
	v_cmp_class_f32_e64 s6, v1, 32
	v_mov_b32_e32 v1, v3
	s_and_b32 s6, s6, exec_lo
	s_delay_alu instid0(SALU_CYCLE_1)
	s_or_b32 s3, s3, s6
                                        ; implicit-def: $sgpr6
	s_branch .LBB44_59
.LBB44_62:
	s_set_inst_prefetch_distance 0x2
	s_endpgm
	.section	.rodata,"a",@progbits
	.p2align	6, 0x0
	.amdhsa_kernel _ZN9rocsparseL16kernel_calculateILi1024ELi64ELb1E21rocsparse_complex_numIfEiiEEvT4_T3_PKS4_S6_PKS3_PKT2_21rocsparse_index_base_S6_S6_S8_S6_S6_S8_S6_PS9_PNS_15floating_traitsIS9_E6data_tEPKSG_
		.amdhsa_group_segment_fixed_size 64
		.amdhsa_private_segment_fixed_size 0
		.amdhsa_kernarg_size 128
		.amdhsa_user_sgpr_count 15
		.amdhsa_user_sgpr_dispatch_ptr 0
		.amdhsa_user_sgpr_queue_ptr 0
		.amdhsa_user_sgpr_kernarg_segment_ptr 1
		.amdhsa_user_sgpr_dispatch_id 0
		.amdhsa_user_sgpr_private_segment_size 0
		.amdhsa_wavefront_size32 1
		.amdhsa_uses_dynamic_stack 0
		.amdhsa_enable_private_segment 0
		.amdhsa_system_sgpr_workgroup_id_x 1
		.amdhsa_system_sgpr_workgroup_id_y 0
		.amdhsa_system_sgpr_workgroup_id_z 0
		.amdhsa_system_sgpr_workgroup_info 0
		.amdhsa_system_vgpr_workitem_id 0
		.amdhsa_next_free_vgpr 32
		.amdhsa_next_free_sgpr 42
		.amdhsa_reserve_vcc 1
		.amdhsa_float_round_mode_32 0
		.amdhsa_float_round_mode_16_64 0
		.amdhsa_float_denorm_mode_32 3
		.amdhsa_float_denorm_mode_16_64 3
		.amdhsa_dx10_clamp 1
		.amdhsa_ieee_mode 1
		.amdhsa_fp16_overflow 0
		.amdhsa_workgroup_processor_mode 1
		.amdhsa_memory_ordered 1
		.amdhsa_forward_progress 0
		.amdhsa_shared_vgpr_count 0
		.amdhsa_exception_fp_ieee_invalid_op 0
		.amdhsa_exception_fp_denorm_src 0
		.amdhsa_exception_fp_ieee_div_zero 0
		.amdhsa_exception_fp_ieee_overflow 0
		.amdhsa_exception_fp_ieee_underflow 0
		.amdhsa_exception_fp_ieee_inexact 0
		.amdhsa_exception_int_div_zero 0
	.end_amdhsa_kernel
	.section	.text._ZN9rocsparseL16kernel_calculateILi1024ELi64ELb1E21rocsparse_complex_numIfEiiEEvT4_T3_PKS4_S6_PKS3_PKT2_21rocsparse_index_base_S6_S6_S8_S6_S6_S8_S6_PS9_PNS_15floating_traitsIS9_E6data_tEPKSG_,"axG",@progbits,_ZN9rocsparseL16kernel_calculateILi1024ELi64ELb1E21rocsparse_complex_numIfEiiEEvT4_T3_PKS4_S6_PKS3_PKT2_21rocsparse_index_base_S6_S6_S8_S6_S6_S8_S6_PS9_PNS_15floating_traitsIS9_E6data_tEPKSG_,comdat
.Lfunc_end44:
	.size	_ZN9rocsparseL16kernel_calculateILi1024ELi64ELb1E21rocsparse_complex_numIfEiiEEvT4_T3_PKS4_S6_PKS3_PKT2_21rocsparse_index_base_S6_S6_S8_S6_S6_S8_S6_PS9_PNS_15floating_traitsIS9_E6data_tEPKSG_, .Lfunc_end44-_ZN9rocsparseL16kernel_calculateILi1024ELi64ELb1E21rocsparse_complex_numIfEiiEEvT4_T3_PKS4_S6_PKS3_PKT2_21rocsparse_index_base_S6_S6_S8_S6_S6_S8_S6_PS9_PNS_15floating_traitsIS9_E6data_tEPKSG_
                                        ; -- End function
	.section	.AMDGPU.csdata,"",@progbits
; Kernel info:
; codeLenInByte = 3944
; NumSgprs: 44
; NumVgprs: 32
; ScratchSize: 0
; MemoryBound: 0
; FloatMode: 240
; IeeeMode: 1
; LDSByteSize: 64 bytes/workgroup (compile time only)
; SGPRBlocks: 5
; VGPRBlocks: 3
; NumSGPRsForWavesPerEU: 44
; NumVGPRsForWavesPerEU: 32
; Occupancy: 16
; WaveLimiterHint : 1
; COMPUTE_PGM_RSRC2:SCRATCH_EN: 0
; COMPUTE_PGM_RSRC2:USER_SGPR: 15
; COMPUTE_PGM_RSRC2:TRAP_HANDLER: 0
; COMPUTE_PGM_RSRC2:TGID_X_EN: 1
; COMPUTE_PGM_RSRC2:TGID_Y_EN: 0
; COMPUTE_PGM_RSRC2:TGID_Z_EN: 0
; COMPUTE_PGM_RSRC2:TIDIG_COMP_CNT: 0
	.section	.text._ZN9rocsparseL16kernel_calculateILi1024ELi1ELb0E21rocsparse_complex_numIfEiiEEvT4_T3_PKS4_S6_PKS3_PKT2_21rocsparse_index_base_S6_S6_S8_S6_S6_S8_S6_PS9_PNS_15floating_traitsIS9_E6data_tEPKSG_,"axG",@progbits,_ZN9rocsparseL16kernel_calculateILi1024ELi1ELb0E21rocsparse_complex_numIfEiiEEvT4_T3_PKS4_S6_PKS3_PKT2_21rocsparse_index_base_S6_S6_S8_S6_S6_S8_S6_PS9_PNS_15floating_traitsIS9_E6data_tEPKSG_,comdat
	.globl	_ZN9rocsparseL16kernel_calculateILi1024ELi1ELb0E21rocsparse_complex_numIfEiiEEvT4_T3_PKS4_S6_PKS3_PKT2_21rocsparse_index_base_S6_S6_S8_S6_S6_S8_S6_PS9_PNS_15floating_traitsIS9_E6data_tEPKSG_ ; -- Begin function _ZN9rocsparseL16kernel_calculateILi1024ELi1ELb0E21rocsparse_complex_numIfEiiEEvT4_T3_PKS4_S6_PKS3_PKT2_21rocsparse_index_base_S6_S6_S8_S6_S6_S8_S6_PS9_PNS_15floating_traitsIS9_E6data_tEPKSG_
	.p2align	8
	.type	_ZN9rocsparseL16kernel_calculateILi1024ELi1ELb0E21rocsparse_complex_numIfEiiEEvT4_T3_PKS4_S6_PKS3_PKT2_21rocsparse_index_base_S6_S6_S8_S6_S6_S8_S6_PS9_PNS_15floating_traitsIS9_E6data_tEPKSG_,@function
_ZN9rocsparseL16kernel_calculateILi1024ELi1ELb0E21rocsparse_complex_numIfEiiEEvT4_T3_PKS4_S6_PKS3_PKT2_21rocsparse_index_base_S6_S6_S8_S6_S6_S8_S6_PS9_PNS_15floating_traitsIS9_E6data_tEPKSG_: ; @_ZN9rocsparseL16kernel_calculateILi1024ELi1ELb0E21rocsparse_complex_numIfEiiEEvT4_T3_PKS4_S6_PKS3_PKT2_21rocsparse_index_base_S6_S6_S8_S6_S6_S8_S6_PS9_PNS_15floating_traitsIS9_E6data_tEPKSG_
; %bb.0:
	s_load_b32 s2, s[0:1], 0x0
	v_lshl_or_b32 v0, s15, 10, v0
	s_waitcnt lgkmcnt(0)
	s_delay_alu instid0(VALU_DEP_1)
	v_cmp_gt_i32_e32 vcc_lo, s2, v0
	s_and_saveexec_b32 s2, vcc_lo
	s_cbranch_execz .LBB45_20
; %bb.1:
	s_load_b128 s[4:7], s[0:1], 0x8
	v_ashrrev_i32_e32 v1, 31, v0
	s_delay_alu instid0(VALU_DEP_1) | instskip(SKIP_1) | instid1(VALU_DEP_1)
	v_lshlrev_b64 v[1:2], 2, v[0:1]
	s_waitcnt lgkmcnt(0)
	v_add_co_u32 v3, vcc_lo, s6, v1
	s_delay_alu instid0(VALU_DEP_2)
	v_add_co_ci_u32_e32 v4, vcc_lo, s7, v2, vcc_lo
	v_add_co_u32 v5, vcc_lo, s4, v1
	v_add_co_ci_u32_e32 v6, vcc_lo, s5, v2, vcc_lo
	global_load_b32 v3, v[3:4], off
	global_load_b32 v4, v[5:6], off
	s_waitcnt vmcnt(0)
	v_cmp_lt_i32_e32 vcc_lo, v4, v3
	s_and_b32 exec_lo, exec_lo, vcc_lo
	s_cbranch_execz .LBB45_20
; %bb.2:
	s_load_b256 s[4:11], s[0:1], 0x30
	s_mov_b32 s3, 0
	s_waitcnt lgkmcnt(0)
	v_add_co_u32 v5, vcc_lo, s6, v1
	v_add_co_ci_u32_e32 v6, vcc_lo, s7, v2, vcc_lo
	v_add_co_u32 v1, vcc_lo, s4, v1
	v_add_co_ci_u32_e32 v2, vcc_lo, s5, v2, vcc_lo
	global_load_b32 v5, v[5:6], off
	global_load_b32 v2, v[1:2], off
	s_clause 0x2
	s_load_b32 s2, s[0:1], 0x28
	s_load_b128 s[20:23], s[0:1], 0x18
	s_load_b256 s[12:19], s[0:1], 0x50
	s_waitcnt lgkmcnt(0)
	v_subrev_nc_u32_e32 v15, s2, v3
	v_subrev_nc_u32_e32 v1, s2, v4
	s_waitcnt vmcnt(1)
	v_subrev_nc_u32_e32 v16, s2, v5
	s_waitcnt vmcnt(0)
	v_cmp_lt_i32_e64 s0, v2, v5
	v_subrev_nc_u32_e32 v17, s2, v2
	s_branch .LBB45_4
.LBB45_3:                               ;   in Loop: Header=BB45_4 Depth=1
	s_or_b32 exec_lo, exec_lo, s1
	v_add_nc_u32_e32 v1, 1, v1
	s_delay_alu instid0(VALU_DEP_1) | instskip(SKIP_1) | instid1(SALU_CYCLE_1)
	v_cmp_ge_i32_e32 vcc_lo, v1, v15
	s_or_b32 s3, vcc_lo, s3
	s_and_not1_b32 exec_lo, exec_lo, s3
	s_cbranch_execz .LBB45_20
.LBB45_4:                               ; =>This Loop Header: Depth=1
                                        ;     Child Loop BB45_7 Depth 2
	v_ashrrev_i32_e32 v2, 31, v1
	v_dual_mov_b32 v18, 0 :: v_dual_mov_b32 v19, 0
	s_delay_alu instid0(VALU_DEP_2) | instskip(NEXT) | instid1(VALU_DEP_1)
	v_lshlrev_b64 v[3:4], 2, v[1:2]
	v_add_co_u32 v3, vcc_lo, s20, v3
	s_delay_alu instid0(VALU_DEP_2) | instskip(SKIP_4) | instid1(VALU_DEP_2)
	v_add_co_ci_u32_e32 v4, vcc_lo, s21, v4, vcc_lo
	global_load_b32 v3, v[3:4], off
	s_waitcnt vmcnt(0)
	v_subrev_nc_u32_e32 v6, s2, v3
	v_lshlrev_b64 v[2:3], 3, v[1:2]
	v_ashrrev_i32_e32 v7, 31, v6
	s_delay_alu instid0(VALU_DEP_1) | instskip(NEXT) | instid1(VALU_DEP_1)
	v_lshlrev_b64 v[4:5], 2, v[6:7]
	v_add_co_u32 v7, vcc_lo, s6, v4
	s_delay_alu instid0(VALU_DEP_2)
	v_add_co_ci_u32_e32 v8, vcc_lo, s7, v5, vcc_lo
	v_add_co_u32 v9, vcc_lo, s12, v4
	v_add_co_ci_u32_e32 v10, vcc_lo, s13, v5, vcc_lo
	global_load_b32 v7, v[7:8], off
	v_add_co_u32 v4, vcc_lo, s10, v4
	v_add_co_ci_u32_e32 v5, vcc_lo, s11, v5, vcc_lo
	v_add_co_u32 v11, vcc_lo, s22, v2
	v_add_co_ci_u32_e32 v12, vcc_lo, s23, v3, vcc_lo
	global_load_b32 v9, v[9:10], off
	global_load_b32 v10, v[4:5], off
	s_waitcnt vmcnt(2)
	v_subrev_nc_u32_e32 v7, s2, v7
	s_delay_alu instid0(VALU_DEP_1) | instskip(NEXT) | instid1(VALU_DEP_1)
	v_ashrrev_i32_e32 v8, 31, v7
	v_lshlrev_b64 v[7:8], 3, v[7:8]
	s_delay_alu instid0(VALU_DEP_1) | instskip(NEXT) | instid1(VALU_DEP_2)
	v_add_co_u32 v7, vcc_lo, s18, v7
	v_add_co_ci_u32_e32 v8, vcc_lo, s19, v8, vcc_lo
	s_waitcnt vmcnt(0)
	v_cmp_lt_i32_e32 vcc_lo, v10, v9
	global_load_b64 v[4:5], v[11:12], off
	global_load_b64 v[7:8], v[7:8], off
	s_and_b32 s1, s0, vcc_lo
	s_delay_alu instid0(SALU_CYCLE_1)
	s_and_saveexec_b32 s4, s1
	s_cbranch_execz .LBB45_10
; %bb.5:                                ;   in Loop: Header=BB45_4 Depth=1
	v_subrev_nc_u32_e32 v20, s2, v9
	v_subrev_nc_u32_e32 v9, s2, v10
	v_dual_mov_b32 v18, 0 :: v_dual_mov_b32 v11, v17
	v_mov_b32_e32 v19, 0
	s_mov_b32 s5, 0
	s_branch .LBB45_7
.LBB45_6:                               ;   in Loop: Header=BB45_7 Depth=2
	s_or_b32 exec_lo, exec_lo, s1
	v_cmp_le_i32_e32 vcc_lo, v10, v21
	v_add_co_ci_u32_e32 v11, vcc_lo, 0, v11, vcc_lo
	v_cmp_ge_i32_e32 vcc_lo, v10, v21
	v_add_co_ci_u32_e32 v9, vcc_lo, 0, v9, vcc_lo
	s_delay_alu instid0(VALU_DEP_3) | instskip(NEXT) | instid1(VALU_DEP_2)
	v_cmp_ge_i32_e32 vcc_lo, v11, v16
	v_cmp_ge_i32_e64 s1, v9, v20
	s_delay_alu instid0(VALU_DEP_1) | instskip(NEXT) | instid1(SALU_CYCLE_1)
	s_or_b32 s1, vcc_lo, s1
	s_and_b32 s1, exec_lo, s1
	s_delay_alu instid0(SALU_CYCLE_1) | instskip(NEXT) | instid1(SALU_CYCLE_1)
	s_or_b32 s5, s1, s5
	s_and_not1_b32 exec_lo, exec_lo, s5
	s_cbranch_execz .LBB45_9
.LBB45_7:                               ;   Parent Loop BB45_4 Depth=1
                                        ; =>  This Inner Loop Header: Depth=2
	s_delay_alu instid0(VALU_DEP_2) | instskip(SKIP_2) | instid1(VALU_DEP_2)
	v_ashrrev_i32_e32 v12, 31, v11
	v_ashrrev_i32_e32 v10, 31, v9
	s_mov_b32 s1, exec_lo
	v_lshlrev_b64 v[21:22], 2, v[11:12]
	s_delay_alu instid0(VALU_DEP_2) | instskip(NEXT) | instid1(VALU_DEP_2)
	v_lshlrev_b64 v[13:14], 2, v[9:10]
	v_add_co_u32 v21, vcc_lo, s8, v21
	s_delay_alu instid0(VALU_DEP_3) | instskip(NEXT) | instid1(VALU_DEP_3)
	v_add_co_ci_u32_e32 v22, vcc_lo, s9, v22, vcc_lo
	v_add_co_u32 v23, vcc_lo, s14, v13
	s_delay_alu instid0(VALU_DEP_4)
	v_add_co_ci_u32_e32 v24, vcc_lo, s15, v14, vcc_lo
	global_load_b32 v10, v[21:22], off
	global_load_b32 v21, v[23:24], off
	s_waitcnt vmcnt(0)
	v_cmpx_eq_u32_e64 v10, v21
	s_cbranch_execz .LBB45_6
; %bb.8:                                ;   in Loop: Header=BB45_7 Depth=2
	v_add_co_u32 v13, vcc_lo, s16, v13
	v_add_co_ci_u32_e32 v14, vcc_lo, s17, v14, vcc_lo
	v_lshlrev_b64 v[22:23], 3, v[11:12]
	global_load_b32 v13, v[13:14], off
	v_add_co_u32 v22, vcc_lo, s18, v22
	v_add_co_ci_u32_e32 v23, vcc_lo, s19, v23, vcc_lo
	s_waitcnt vmcnt(0)
	v_ashrrev_i32_e32 v14, 31, v13
	s_delay_alu instid0(VALU_DEP_1) | instskip(NEXT) | instid1(VALU_DEP_1)
	v_lshlrev_b64 v[12:13], 3, v[13:14]
	v_add_co_u32 v12, vcc_lo, s18, v12
	s_delay_alu instid0(VALU_DEP_2)
	v_add_co_ci_u32_e32 v13, vcc_lo, s19, v13, vcc_lo
	s_clause 0x1
	global_load_b64 v[22:23], v[22:23], off
	global_load_b64 v[12:13], v[12:13], off
	s_waitcnt vmcnt(0)
	v_fmac_f32_e32 v18, v22, v12
	v_fmac_f32_e32 v19, v23, v12
	s_delay_alu instid0(VALU_DEP_2) | instskip(NEXT) | instid1(VALU_DEP_2)
	v_fma_f32 v18, -v23, v13, v18
	v_fmac_f32_e32 v19, v22, v13
	s_branch .LBB45_6
.LBB45_9:                               ;   in Loop: Header=BB45_4 Depth=1
	s_or_b32 exec_lo, exec_lo, s5
.LBB45_10:                              ;   in Loop: Header=BB45_4 Depth=1
	s_delay_alu instid0(SALU_CYCLE_1)
	s_or_b32 exec_lo, exec_lo, s4
	s_waitcnt vmcnt(1)
	v_dual_sub_f32 v4, v4, v18 :: v_dual_sub_f32 v5, v5, v19
	s_mov_b32 s1, exec_lo
	v_cmpx_gt_i32_e64 v0, v6
	s_cbranch_execz .LBB45_12
; %bb.11:                               ;   in Loop: Header=BB45_4 Depth=1
	s_waitcnt vmcnt(0)
	v_mul_f32_e32 v6, v8, v8
	s_delay_alu instid0(VALU_DEP_1) | instskip(NEXT) | instid1(VALU_DEP_1)
	v_fmac_f32_e32 v6, v7, v7
	v_div_scale_f32 v9, null, v6, v6, 1.0
	v_div_scale_f32 v12, vcc_lo, 1.0, v6, 1.0
	s_delay_alu instid0(VALU_DEP_2) | instskip(SKIP_2) | instid1(VALU_DEP_1)
	v_rcp_f32_e32 v10, v9
	s_waitcnt_depctr 0xfff
	v_fma_f32 v11, -v9, v10, 1.0
	v_fmac_f32_e32 v10, v11, v10
	s_delay_alu instid0(VALU_DEP_1) | instskip(NEXT) | instid1(VALU_DEP_1)
	v_mul_f32_e32 v11, v12, v10
	v_fma_f32 v13, -v9, v11, v12
	s_delay_alu instid0(VALU_DEP_1) | instskip(NEXT) | instid1(VALU_DEP_1)
	v_fmac_f32_e32 v11, v13, v10
	v_fma_f32 v9, -v9, v11, v12
	s_delay_alu instid0(VALU_DEP_1) | instskip(SKIP_2) | instid1(VALU_DEP_3)
	v_div_fmas_f32 v9, v9, v10, v11
	v_mul_f32_e32 v10, v8, v5
	v_mul_f32_e64 v8, v8, -v4
	v_div_fixup_f32 v6, v9, v6, 1.0
	s_delay_alu instid0(VALU_DEP_3) | instskip(NEXT) | instid1(VALU_DEP_3)
	v_fmac_f32_e32 v10, v4, v7
	v_fmac_f32_e32 v8, v5, v7
	s_delay_alu instid0(VALU_DEP_2) | instskip(NEXT) | instid1(VALU_DEP_2)
	v_mul_f32_e32 v4, v6, v10
	v_mul_f32_e32 v5, v6, v8
.LBB45_12:                              ;   in Loop: Header=BB45_4 Depth=1
	s_or_b32 exec_lo, exec_lo, s1
	s_delay_alu instid0(VALU_DEP_2)
	v_cmp_gt_f32_e32 vcc_lo, 0, v4
                                        ; implicit-def: $vgpr8
	s_mov_b32 s1, exec_lo
	v_cndmask_b32_e64 v6, v4, -v4, vcc_lo
	v_cmp_gt_f32_e32 vcc_lo, 0, v5
	s_waitcnt vmcnt(0)
	v_cndmask_b32_e64 v7, v5, -v5, vcc_lo
	s_delay_alu instid0(VALU_DEP_1)
	v_cmpx_ngt_f32_e32 v6, v7
	s_xor_b32 s4, exec_lo, s1
	s_cbranch_execnz .LBB45_15
; %bb.13:                               ;   in Loop: Header=BB45_4 Depth=1
	s_and_not1_saveexec_b32 s4, s4
	s_cbranch_execnz .LBB45_18
.LBB45_14:                              ;   in Loop: Header=BB45_4 Depth=1
	s_or_b32 exec_lo, exec_lo, s4
	v_cmp_class_f32_e64 s4, v8, 0x1f8
	s_delay_alu instid0(VALU_DEP_1)
	s_and_saveexec_b32 s1, s4
	s_cbranch_execz .LBB45_3
	s_branch .LBB45_19
.LBB45_15:                              ;   in Loop: Header=BB45_4 Depth=1
	v_mov_b32_e32 v8, 0
	s_mov_b32 s5, exec_lo
	v_cmpx_neq_f32_e32 0, v5
	s_cbranch_execz .LBB45_17
; %bb.16:                               ;   in Loop: Header=BB45_4 Depth=1
	v_div_scale_f32 v8, null, v7, v7, v6
	v_div_scale_f32 v11, vcc_lo, v6, v7, v6
	s_delay_alu instid0(VALU_DEP_2) | instskip(SKIP_2) | instid1(VALU_DEP_1)
	v_rcp_f32_e32 v9, v8
	s_waitcnt_depctr 0xfff
	v_fma_f32 v10, -v8, v9, 1.0
	v_fmac_f32_e32 v9, v10, v9
	s_delay_alu instid0(VALU_DEP_1) | instskip(NEXT) | instid1(VALU_DEP_1)
	v_mul_f32_e32 v10, v11, v9
	v_fma_f32 v12, -v8, v10, v11
	s_delay_alu instid0(VALU_DEP_1) | instskip(NEXT) | instid1(VALU_DEP_1)
	v_fmac_f32_e32 v10, v12, v9
	v_fma_f32 v8, -v8, v10, v11
	s_delay_alu instid0(VALU_DEP_1) | instskip(NEXT) | instid1(VALU_DEP_1)
	v_div_fmas_f32 v8, v8, v9, v10
	v_div_fixup_f32 v6, v8, v7, v6
	s_delay_alu instid0(VALU_DEP_1) | instskip(NEXT) | instid1(VALU_DEP_1)
	v_fma_f32 v6, v6, v6, 1.0
	v_mul_f32_e32 v8, 0x4f800000, v6
	v_cmp_gt_f32_e32 vcc_lo, 0xf800000, v6
	s_delay_alu instid0(VALU_DEP_2) | instskip(NEXT) | instid1(VALU_DEP_1)
	v_cndmask_b32_e32 v6, v6, v8, vcc_lo
	v_sqrt_f32_e32 v8, v6
	s_waitcnt_depctr 0xfff
	v_add_nc_u32_e32 v9, -1, v8
	v_add_nc_u32_e32 v10, 1, v8
	s_delay_alu instid0(VALU_DEP_2) | instskip(NEXT) | instid1(VALU_DEP_2)
	v_fma_f32 v11, -v9, v8, v6
	v_fma_f32 v12, -v10, v8, v6
	s_delay_alu instid0(VALU_DEP_2) | instskip(NEXT) | instid1(VALU_DEP_1)
	v_cmp_ge_f32_e64 s1, 0, v11
	v_cndmask_b32_e64 v8, v8, v9, s1
	s_delay_alu instid0(VALU_DEP_3) | instskip(NEXT) | instid1(VALU_DEP_1)
	v_cmp_lt_f32_e64 s1, 0, v12
	v_cndmask_b32_e64 v8, v8, v10, s1
	s_delay_alu instid0(VALU_DEP_1) | instskip(NEXT) | instid1(VALU_DEP_1)
	v_mul_f32_e32 v9, 0x37800000, v8
	v_cndmask_b32_e32 v8, v8, v9, vcc_lo
	v_cmp_class_f32_e64 vcc_lo, v6, 0x260
	s_delay_alu instid0(VALU_DEP_2) | instskip(NEXT) | instid1(VALU_DEP_1)
	v_cndmask_b32_e32 v6, v8, v6, vcc_lo
	v_mul_f32_e32 v8, v7, v6
.LBB45_17:                              ;   in Loop: Header=BB45_4 Depth=1
	s_or_b32 exec_lo, exec_lo, s5
                                        ; implicit-def: $vgpr6
                                        ; implicit-def: $vgpr7
	s_and_not1_saveexec_b32 s4, s4
	s_cbranch_execz .LBB45_14
.LBB45_18:                              ;   in Loop: Header=BB45_4 Depth=1
	v_div_scale_f32 v8, null, v6, v6, v7
	v_div_scale_f32 v11, vcc_lo, v7, v6, v7
	s_delay_alu instid0(VALU_DEP_2) | instskip(SKIP_2) | instid1(VALU_DEP_1)
	v_rcp_f32_e32 v9, v8
	s_waitcnt_depctr 0xfff
	v_fma_f32 v10, -v8, v9, 1.0
	v_fmac_f32_e32 v9, v10, v9
	s_delay_alu instid0(VALU_DEP_1) | instskip(NEXT) | instid1(VALU_DEP_1)
	v_mul_f32_e32 v10, v11, v9
	v_fma_f32 v12, -v8, v10, v11
	s_delay_alu instid0(VALU_DEP_1) | instskip(NEXT) | instid1(VALU_DEP_1)
	v_fmac_f32_e32 v10, v12, v9
	v_fma_f32 v8, -v8, v10, v11
	s_delay_alu instid0(VALU_DEP_1) | instskip(NEXT) | instid1(VALU_DEP_1)
	v_div_fmas_f32 v8, v8, v9, v10
	v_div_fixup_f32 v7, v8, v6, v7
	s_delay_alu instid0(VALU_DEP_1) | instskip(NEXT) | instid1(VALU_DEP_1)
	v_fma_f32 v7, v7, v7, 1.0
	v_mul_f32_e32 v8, 0x4f800000, v7
	v_cmp_gt_f32_e32 vcc_lo, 0xf800000, v7
	s_delay_alu instid0(VALU_DEP_2) | instskip(NEXT) | instid1(VALU_DEP_1)
	v_cndmask_b32_e32 v7, v7, v8, vcc_lo
	v_sqrt_f32_e32 v8, v7
	s_waitcnt_depctr 0xfff
	v_add_nc_u32_e32 v9, -1, v8
	v_add_nc_u32_e32 v10, 1, v8
	s_delay_alu instid0(VALU_DEP_2) | instskip(NEXT) | instid1(VALU_DEP_2)
	v_fma_f32 v11, -v9, v8, v7
	v_fma_f32 v12, -v10, v8, v7
	s_delay_alu instid0(VALU_DEP_2) | instskip(NEXT) | instid1(VALU_DEP_1)
	v_cmp_ge_f32_e64 s1, 0, v11
	v_cndmask_b32_e64 v8, v8, v9, s1
	s_delay_alu instid0(VALU_DEP_3) | instskip(NEXT) | instid1(VALU_DEP_1)
	v_cmp_lt_f32_e64 s1, 0, v12
	v_cndmask_b32_e64 v8, v8, v10, s1
	s_delay_alu instid0(VALU_DEP_1) | instskip(NEXT) | instid1(VALU_DEP_1)
	v_mul_f32_e32 v9, 0x37800000, v8
	v_cndmask_b32_e32 v8, v8, v9, vcc_lo
	v_cmp_class_f32_e64 vcc_lo, v7, 0x260
	s_delay_alu instid0(VALU_DEP_2) | instskip(NEXT) | instid1(VALU_DEP_1)
	v_cndmask_b32_e32 v7, v8, v7, vcc_lo
	v_mul_f32_e32 v8, v6, v7
	s_or_b32 exec_lo, exec_lo, s4
	s_delay_alu instid0(VALU_DEP_1) | instskip(NEXT) | instid1(VALU_DEP_1)
	v_cmp_class_f32_e64 s4, v8, 0x1f8
	s_and_saveexec_b32 s1, s4
	s_cbranch_execz .LBB45_3
.LBB45_19:                              ;   in Loop: Header=BB45_4 Depth=1
	v_add_co_u32 v2, vcc_lo, s18, v2
	v_add_co_ci_u32_e32 v3, vcc_lo, s19, v3, vcc_lo
	global_store_b64 v[2:3], v[4:5], off
	s_branch .LBB45_3
.LBB45_20:
	s_nop 0
	s_sendmsg sendmsg(MSG_DEALLOC_VGPRS)
	s_endpgm
	.section	.rodata,"a",@progbits
	.p2align	6, 0x0
	.amdhsa_kernel _ZN9rocsparseL16kernel_calculateILi1024ELi1ELb0E21rocsparse_complex_numIfEiiEEvT4_T3_PKS4_S6_PKS3_PKT2_21rocsparse_index_base_S6_S6_S8_S6_S6_S8_S6_PS9_PNS_15floating_traitsIS9_E6data_tEPKSG_
		.amdhsa_group_segment_fixed_size 0
		.amdhsa_private_segment_fixed_size 0
		.amdhsa_kernarg_size 128
		.amdhsa_user_sgpr_count 15
		.amdhsa_user_sgpr_dispatch_ptr 0
		.amdhsa_user_sgpr_queue_ptr 0
		.amdhsa_user_sgpr_kernarg_segment_ptr 1
		.amdhsa_user_sgpr_dispatch_id 0
		.amdhsa_user_sgpr_private_segment_size 0
		.amdhsa_wavefront_size32 1
		.amdhsa_uses_dynamic_stack 0
		.amdhsa_enable_private_segment 0
		.amdhsa_system_sgpr_workgroup_id_x 1
		.amdhsa_system_sgpr_workgroup_id_y 0
		.amdhsa_system_sgpr_workgroup_id_z 0
		.amdhsa_system_sgpr_workgroup_info 0
		.amdhsa_system_vgpr_workitem_id 0
		.amdhsa_next_free_vgpr 25
		.amdhsa_next_free_sgpr 24
		.amdhsa_reserve_vcc 1
		.amdhsa_float_round_mode_32 0
		.amdhsa_float_round_mode_16_64 0
		.amdhsa_float_denorm_mode_32 3
		.amdhsa_float_denorm_mode_16_64 3
		.amdhsa_dx10_clamp 1
		.amdhsa_ieee_mode 1
		.amdhsa_fp16_overflow 0
		.amdhsa_workgroup_processor_mode 1
		.amdhsa_memory_ordered 1
		.amdhsa_forward_progress 0
		.amdhsa_shared_vgpr_count 0
		.amdhsa_exception_fp_ieee_invalid_op 0
		.amdhsa_exception_fp_denorm_src 0
		.amdhsa_exception_fp_ieee_div_zero 0
		.amdhsa_exception_fp_ieee_overflow 0
		.amdhsa_exception_fp_ieee_underflow 0
		.amdhsa_exception_fp_ieee_inexact 0
		.amdhsa_exception_int_div_zero 0
	.end_amdhsa_kernel
	.section	.text._ZN9rocsparseL16kernel_calculateILi1024ELi1ELb0E21rocsparse_complex_numIfEiiEEvT4_T3_PKS4_S6_PKS3_PKT2_21rocsparse_index_base_S6_S6_S8_S6_S6_S8_S6_PS9_PNS_15floating_traitsIS9_E6data_tEPKSG_,"axG",@progbits,_ZN9rocsparseL16kernel_calculateILi1024ELi1ELb0E21rocsparse_complex_numIfEiiEEvT4_T3_PKS4_S6_PKS3_PKT2_21rocsparse_index_base_S6_S6_S8_S6_S6_S8_S6_PS9_PNS_15floating_traitsIS9_E6data_tEPKSG_,comdat
.Lfunc_end45:
	.size	_ZN9rocsparseL16kernel_calculateILi1024ELi1ELb0E21rocsparse_complex_numIfEiiEEvT4_T3_PKS4_S6_PKS3_PKT2_21rocsparse_index_base_S6_S6_S8_S6_S6_S8_S6_PS9_PNS_15floating_traitsIS9_E6data_tEPKSG_, .Lfunc_end45-_ZN9rocsparseL16kernel_calculateILi1024ELi1ELb0E21rocsparse_complex_numIfEiiEEvT4_T3_PKS4_S6_PKS3_PKT2_21rocsparse_index_base_S6_S6_S8_S6_S6_S8_S6_PS9_PNS_15floating_traitsIS9_E6data_tEPKSG_
                                        ; -- End function
	.section	.AMDGPU.csdata,"",@progbits
; Kernel info:
; codeLenInByte = 1692
; NumSgprs: 26
; NumVgprs: 25
; ScratchSize: 0
; MemoryBound: 0
; FloatMode: 240
; IeeeMode: 1
; LDSByteSize: 0 bytes/workgroup (compile time only)
; SGPRBlocks: 3
; VGPRBlocks: 3
; NumSGPRsForWavesPerEU: 26
; NumVGPRsForWavesPerEU: 25
; Occupancy: 16
; WaveLimiterHint : 1
; COMPUTE_PGM_RSRC2:SCRATCH_EN: 0
; COMPUTE_PGM_RSRC2:USER_SGPR: 15
; COMPUTE_PGM_RSRC2:TRAP_HANDLER: 0
; COMPUTE_PGM_RSRC2:TGID_X_EN: 1
; COMPUTE_PGM_RSRC2:TGID_Y_EN: 0
; COMPUTE_PGM_RSRC2:TGID_Z_EN: 0
; COMPUTE_PGM_RSRC2:TIDIG_COMP_CNT: 0
	.section	.text._ZN9rocsparseL16kernel_calculateILi1024ELi2ELb0E21rocsparse_complex_numIfEiiEEvT4_T3_PKS4_S6_PKS3_PKT2_21rocsparse_index_base_S6_S6_S8_S6_S6_S8_S6_PS9_PNS_15floating_traitsIS9_E6data_tEPKSG_,"axG",@progbits,_ZN9rocsparseL16kernel_calculateILi1024ELi2ELb0E21rocsparse_complex_numIfEiiEEvT4_T3_PKS4_S6_PKS3_PKT2_21rocsparse_index_base_S6_S6_S8_S6_S6_S8_S6_PS9_PNS_15floating_traitsIS9_E6data_tEPKSG_,comdat
	.globl	_ZN9rocsparseL16kernel_calculateILi1024ELi2ELb0E21rocsparse_complex_numIfEiiEEvT4_T3_PKS4_S6_PKS3_PKT2_21rocsparse_index_base_S6_S6_S8_S6_S6_S8_S6_PS9_PNS_15floating_traitsIS9_E6data_tEPKSG_ ; -- Begin function _ZN9rocsparseL16kernel_calculateILi1024ELi2ELb0E21rocsparse_complex_numIfEiiEEvT4_T3_PKS4_S6_PKS3_PKT2_21rocsparse_index_base_S6_S6_S8_S6_S6_S8_S6_PS9_PNS_15floating_traitsIS9_E6data_tEPKSG_
	.p2align	8
	.type	_ZN9rocsparseL16kernel_calculateILi1024ELi2ELb0E21rocsparse_complex_numIfEiiEEvT4_T3_PKS4_S6_PKS3_PKT2_21rocsparse_index_base_S6_S6_S8_S6_S6_S8_S6_PS9_PNS_15floating_traitsIS9_E6data_tEPKSG_,@function
_ZN9rocsparseL16kernel_calculateILi1024ELi2ELb0E21rocsparse_complex_numIfEiiEEvT4_T3_PKS4_S6_PKS3_PKT2_21rocsparse_index_base_S6_S6_S8_S6_S6_S8_S6_PS9_PNS_15floating_traitsIS9_E6data_tEPKSG_: ; @_ZN9rocsparseL16kernel_calculateILi1024ELi2ELb0E21rocsparse_complex_numIfEiiEEvT4_T3_PKS4_S6_PKS3_PKT2_21rocsparse_index_base_S6_S6_S8_S6_S6_S8_S6_PS9_PNS_15floating_traitsIS9_E6data_tEPKSG_
; %bb.0:
	s_load_b32 s3, s[0:1], 0x0
	v_lshrrev_b32_e32 v1, 1, v0
	s_mov_b32 s2, exec_lo
	s_delay_alu instid0(VALU_DEP_1) | instskip(SKIP_1) | instid1(VALU_DEP_1)
	v_lshl_or_b32 v1, s15, 10, v1
	s_waitcnt lgkmcnt(0)
	v_cmpx_gt_i32_e64 s3, v1
	s_cbranch_execz .LBB46_40
; %bb.1:
	s_load_b256 s[4:11], s[0:1], 0x8
	v_ashrrev_i32_e32 v2, 31, v1
	v_and_b32_e32 v0, 1, v0
	s_delay_alu instid0(VALU_DEP_2) | instskip(SKIP_1) | instid1(VALU_DEP_1)
	v_lshlrev_b64 v[2:3], 2, v[1:2]
	s_waitcnt lgkmcnt(0)
	v_add_co_u32 v4, vcc_lo, s6, v2
	s_delay_alu instid0(VALU_DEP_2)
	v_add_co_ci_u32_e32 v5, vcc_lo, s7, v3, vcc_lo
	v_add_co_u32 v6, vcc_lo, s4, v2
	v_add_co_ci_u32_e32 v7, vcc_lo, s5, v3, vcc_lo
	s_mov_b32 s4, exec_lo
	global_load_b32 v8, v[4:5], off
	global_load_b32 v9, v[6:7], off
	s_clause 0x2
	s_load_b32 s2, s[0:1], 0x28
	s_load_b256 s[12:19], s[0:1], 0x50
	s_load_b256 s[20:27], s[0:1], 0x30
	s_waitcnt lgkmcnt(0)
	v_subrev_nc_u32_e32 v0, s2, v0
	s_waitcnt vmcnt(1)
	v_subrev_nc_u32_e32 v22, s2, v8
	s_waitcnt vmcnt(0)
	s_delay_alu instid0(VALU_DEP_2) | instskip(NEXT) | instid1(VALU_DEP_1)
	v_add_nc_u32_e32 v8, v0, v9
	v_cmpx_lt_i32_e64 v8, v22
	s_cbranch_execz .LBB46_20
; %bb.2:
	v_add_co_u32 v9, vcc_lo, s22, v2
	v_add_co_ci_u32_e32 v10, vcc_lo, s23, v3, vcc_lo
	v_add_co_u32 v11, vcc_lo, s20, v2
	v_add_co_ci_u32_e32 v12, vcc_lo, s21, v3, vcc_lo
	s_mov_b32 s5, 0
	global_load_b32 v9, v[9:10], off
	global_load_b32 v10, v[11:12], off
	s_waitcnt vmcnt(1)
	v_subrev_nc_u32_e32 v23, s2, v9
	s_waitcnt vmcnt(0)
	v_cmp_lt_i32_e64 s0, v10, v9
	v_subrev_nc_u32_e32 v24, s2, v10
	s_branch .LBB46_4
.LBB46_3:                               ;   in Loop: Header=BB46_4 Depth=1
	s_or_b32 exec_lo, exec_lo, s1
	v_add_nc_u32_e32 v8, 2, v8
	s_delay_alu instid0(VALU_DEP_1) | instskip(SKIP_1) | instid1(SALU_CYCLE_1)
	v_cmp_ge_i32_e32 vcc_lo, v8, v22
	s_or_b32 s5, vcc_lo, s5
	s_and_not1_b32 exec_lo, exec_lo, s5
	s_cbranch_execz .LBB46_20
.LBB46_4:                               ; =>This Loop Header: Depth=1
                                        ;     Child Loop BB46_7 Depth 2
	v_ashrrev_i32_e32 v9, 31, v8
	v_dual_mov_b32 v25, 0 :: v_dual_mov_b32 v26, 0
	s_delay_alu instid0(VALU_DEP_2) | instskip(NEXT) | instid1(VALU_DEP_1)
	v_lshlrev_b64 v[10:11], 2, v[8:9]
	v_add_co_u32 v10, vcc_lo, s8, v10
	s_delay_alu instid0(VALU_DEP_2) | instskip(SKIP_4) | instid1(VALU_DEP_2)
	v_add_co_ci_u32_e32 v11, vcc_lo, s9, v11, vcc_lo
	global_load_b32 v10, v[10:11], off
	s_waitcnt vmcnt(0)
	v_subrev_nc_u32_e32 v13, s2, v10
	v_lshlrev_b64 v[9:10], 3, v[8:9]
	v_ashrrev_i32_e32 v14, 31, v13
	s_delay_alu instid0(VALU_DEP_1) | instskip(NEXT) | instid1(VALU_DEP_1)
	v_lshlrev_b64 v[11:12], 2, v[13:14]
	v_add_co_u32 v14, vcc_lo, s22, v11
	s_delay_alu instid0(VALU_DEP_2)
	v_add_co_ci_u32_e32 v15, vcc_lo, s23, v12, vcc_lo
	v_add_co_u32 v16, vcc_lo, s12, v11
	v_add_co_ci_u32_e32 v17, vcc_lo, s13, v12, vcc_lo
	global_load_b32 v14, v[14:15], off
	v_add_co_u32 v11, vcc_lo, s26, v11
	v_add_co_ci_u32_e32 v12, vcc_lo, s27, v12, vcc_lo
	v_add_co_u32 v18, vcc_lo, s10, v9
	v_add_co_ci_u32_e32 v19, vcc_lo, s11, v10, vcc_lo
	global_load_b32 v16, v[16:17], off
	global_load_b32 v17, v[11:12], off
	s_waitcnt vmcnt(2)
	v_subrev_nc_u32_e32 v14, s2, v14
	s_delay_alu instid0(VALU_DEP_1) | instskip(NEXT) | instid1(VALU_DEP_1)
	v_ashrrev_i32_e32 v15, 31, v14
	v_lshlrev_b64 v[14:15], 3, v[14:15]
	s_delay_alu instid0(VALU_DEP_1) | instskip(NEXT) | instid1(VALU_DEP_2)
	v_add_co_u32 v14, vcc_lo, s18, v14
	v_add_co_ci_u32_e32 v15, vcc_lo, s19, v15, vcc_lo
	s_waitcnt vmcnt(0)
	v_cmp_lt_i32_e32 vcc_lo, v17, v16
	global_load_b64 v[11:12], v[18:19], off
	global_load_b64 v[14:15], v[14:15], off
	s_and_b32 s1, s0, vcc_lo
	s_delay_alu instid0(SALU_CYCLE_1)
	s_and_saveexec_b32 s6, s1
	s_cbranch_execz .LBB46_10
; %bb.5:                                ;   in Loop: Header=BB46_4 Depth=1
	v_subrev_nc_u32_e32 v27, s2, v16
	v_subrev_nc_u32_e32 v16, s2, v17
	v_dual_mov_b32 v25, 0 :: v_dual_mov_b32 v18, v24
	v_mov_b32_e32 v26, 0
	s_mov_b32 s7, 0
	s_branch .LBB46_7
.LBB46_6:                               ;   in Loop: Header=BB46_7 Depth=2
	s_or_b32 exec_lo, exec_lo, s1
	v_cmp_le_i32_e32 vcc_lo, v17, v28
	v_add_co_ci_u32_e32 v18, vcc_lo, 0, v18, vcc_lo
	v_cmp_ge_i32_e32 vcc_lo, v17, v28
	v_add_co_ci_u32_e32 v16, vcc_lo, 0, v16, vcc_lo
	s_delay_alu instid0(VALU_DEP_3) | instskip(NEXT) | instid1(VALU_DEP_2)
	v_cmp_ge_i32_e32 vcc_lo, v18, v23
	v_cmp_ge_i32_e64 s1, v16, v27
	s_delay_alu instid0(VALU_DEP_1) | instskip(NEXT) | instid1(SALU_CYCLE_1)
	s_or_b32 s1, vcc_lo, s1
	s_and_b32 s1, exec_lo, s1
	s_delay_alu instid0(SALU_CYCLE_1) | instskip(NEXT) | instid1(SALU_CYCLE_1)
	s_or_b32 s7, s1, s7
	s_and_not1_b32 exec_lo, exec_lo, s7
	s_cbranch_execz .LBB46_9
.LBB46_7:                               ;   Parent Loop BB46_4 Depth=1
                                        ; =>  This Inner Loop Header: Depth=2
	s_delay_alu instid0(VALU_DEP_2) | instskip(SKIP_2) | instid1(VALU_DEP_2)
	v_ashrrev_i32_e32 v19, 31, v18
	v_ashrrev_i32_e32 v17, 31, v16
	s_mov_b32 s1, exec_lo
	v_lshlrev_b64 v[28:29], 2, v[18:19]
	s_delay_alu instid0(VALU_DEP_2) | instskip(NEXT) | instid1(VALU_DEP_2)
	v_lshlrev_b64 v[20:21], 2, v[16:17]
	v_add_co_u32 v28, vcc_lo, s24, v28
	s_delay_alu instid0(VALU_DEP_3) | instskip(NEXT) | instid1(VALU_DEP_3)
	v_add_co_ci_u32_e32 v29, vcc_lo, s25, v29, vcc_lo
	v_add_co_u32 v30, vcc_lo, s14, v20
	s_delay_alu instid0(VALU_DEP_4)
	v_add_co_ci_u32_e32 v31, vcc_lo, s15, v21, vcc_lo
	global_load_b32 v17, v[28:29], off
	global_load_b32 v28, v[30:31], off
	s_waitcnt vmcnt(0)
	v_cmpx_eq_u32_e64 v17, v28
	s_cbranch_execz .LBB46_6
; %bb.8:                                ;   in Loop: Header=BB46_7 Depth=2
	v_add_co_u32 v20, vcc_lo, s16, v20
	v_add_co_ci_u32_e32 v21, vcc_lo, s17, v21, vcc_lo
	v_lshlrev_b64 v[29:30], 3, v[18:19]
	global_load_b32 v20, v[20:21], off
	v_add_co_u32 v29, vcc_lo, s18, v29
	v_add_co_ci_u32_e32 v30, vcc_lo, s19, v30, vcc_lo
	s_waitcnt vmcnt(0)
	v_ashrrev_i32_e32 v21, 31, v20
	s_delay_alu instid0(VALU_DEP_1) | instskip(NEXT) | instid1(VALU_DEP_1)
	v_lshlrev_b64 v[19:20], 3, v[20:21]
	v_add_co_u32 v19, vcc_lo, s18, v19
	s_delay_alu instid0(VALU_DEP_2)
	v_add_co_ci_u32_e32 v20, vcc_lo, s19, v20, vcc_lo
	s_clause 0x1
	global_load_b64 v[29:30], v[29:30], off
	global_load_b64 v[19:20], v[19:20], off
	s_waitcnt vmcnt(0)
	v_fmac_f32_e32 v25, v29, v19
	v_fmac_f32_e32 v26, v30, v19
	s_delay_alu instid0(VALU_DEP_2) | instskip(NEXT) | instid1(VALU_DEP_2)
	v_fma_f32 v25, -v30, v20, v25
	v_fmac_f32_e32 v26, v29, v20
	s_branch .LBB46_6
.LBB46_9:                               ;   in Loop: Header=BB46_4 Depth=1
	s_or_b32 exec_lo, exec_lo, s7
.LBB46_10:                              ;   in Loop: Header=BB46_4 Depth=1
	s_delay_alu instid0(SALU_CYCLE_1)
	s_or_b32 exec_lo, exec_lo, s6
	s_waitcnt vmcnt(1)
	v_dual_sub_f32 v11, v11, v25 :: v_dual_sub_f32 v12, v12, v26
	s_mov_b32 s1, exec_lo
	v_cmpx_gt_i32_e64 v1, v13
	s_cbranch_execz .LBB46_12
; %bb.11:                               ;   in Loop: Header=BB46_4 Depth=1
	s_waitcnt vmcnt(0)
	v_mul_f32_e32 v13, v15, v15
	s_delay_alu instid0(VALU_DEP_1) | instskip(NEXT) | instid1(VALU_DEP_1)
	v_fmac_f32_e32 v13, v14, v14
	v_div_scale_f32 v16, null, v13, v13, 1.0
	v_div_scale_f32 v19, vcc_lo, 1.0, v13, 1.0
	s_delay_alu instid0(VALU_DEP_2) | instskip(SKIP_2) | instid1(VALU_DEP_1)
	v_rcp_f32_e32 v17, v16
	s_waitcnt_depctr 0xfff
	v_fma_f32 v18, -v16, v17, 1.0
	v_fmac_f32_e32 v17, v18, v17
	s_delay_alu instid0(VALU_DEP_1) | instskip(NEXT) | instid1(VALU_DEP_1)
	v_mul_f32_e32 v18, v19, v17
	v_fma_f32 v20, -v16, v18, v19
	s_delay_alu instid0(VALU_DEP_1) | instskip(NEXT) | instid1(VALU_DEP_1)
	v_fmac_f32_e32 v18, v20, v17
	v_fma_f32 v16, -v16, v18, v19
	s_delay_alu instid0(VALU_DEP_1) | instskip(SKIP_2) | instid1(VALU_DEP_3)
	v_div_fmas_f32 v16, v16, v17, v18
	v_mul_f32_e32 v17, v15, v12
	v_mul_f32_e64 v15, v15, -v11
	v_div_fixup_f32 v13, v16, v13, 1.0
	s_delay_alu instid0(VALU_DEP_3) | instskip(NEXT) | instid1(VALU_DEP_3)
	v_fmac_f32_e32 v17, v11, v14
	v_fmac_f32_e32 v15, v12, v14
	s_delay_alu instid0(VALU_DEP_2) | instskip(NEXT) | instid1(VALU_DEP_2)
	v_mul_f32_e32 v11, v13, v17
	v_mul_f32_e32 v12, v13, v15
.LBB46_12:                              ;   in Loop: Header=BB46_4 Depth=1
	s_or_b32 exec_lo, exec_lo, s1
	s_delay_alu instid0(VALU_DEP_2)
	v_cmp_gt_f32_e32 vcc_lo, 0, v11
                                        ; implicit-def: $vgpr15
	s_mov_b32 s1, exec_lo
	v_cndmask_b32_e64 v13, v11, -v11, vcc_lo
	v_cmp_gt_f32_e32 vcc_lo, 0, v12
	s_waitcnt vmcnt(0)
	v_cndmask_b32_e64 v14, v12, -v12, vcc_lo
	s_delay_alu instid0(VALU_DEP_1)
	v_cmpx_ngt_f32_e32 v13, v14
	s_xor_b32 s6, exec_lo, s1
	s_cbranch_execnz .LBB46_15
; %bb.13:                               ;   in Loop: Header=BB46_4 Depth=1
	s_and_not1_saveexec_b32 s6, s6
	s_cbranch_execnz .LBB46_18
.LBB46_14:                              ;   in Loop: Header=BB46_4 Depth=1
	s_or_b32 exec_lo, exec_lo, s6
	v_cmp_class_f32_e64 s6, v15, 0x1f8
	s_delay_alu instid0(VALU_DEP_1)
	s_and_saveexec_b32 s1, s6
	s_cbranch_execz .LBB46_3
	s_branch .LBB46_19
.LBB46_15:                              ;   in Loop: Header=BB46_4 Depth=1
	v_mov_b32_e32 v15, 0
	s_mov_b32 s7, exec_lo
	v_cmpx_neq_f32_e32 0, v12
	s_cbranch_execz .LBB46_17
; %bb.16:                               ;   in Loop: Header=BB46_4 Depth=1
	v_div_scale_f32 v15, null, v14, v14, v13
	v_div_scale_f32 v18, vcc_lo, v13, v14, v13
	s_delay_alu instid0(VALU_DEP_2) | instskip(SKIP_2) | instid1(VALU_DEP_1)
	v_rcp_f32_e32 v16, v15
	s_waitcnt_depctr 0xfff
	v_fma_f32 v17, -v15, v16, 1.0
	v_fmac_f32_e32 v16, v17, v16
	s_delay_alu instid0(VALU_DEP_1) | instskip(NEXT) | instid1(VALU_DEP_1)
	v_mul_f32_e32 v17, v18, v16
	v_fma_f32 v19, -v15, v17, v18
	s_delay_alu instid0(VALU_DEP_1) | instskip(NEXT) | instid1(VALU_DEP_1)
	v_fmac_f32_e32 v17, v19, v16
	v_fma_f32 v15, -v15, v17, v18
	s_delay_alu instid0(VALU_DEP_1) | instskip(NEXT) | instid1(VALU_DEP_1)
	v_div_fmas_f32 v15, v15, v16, v17
	v_div_fixup_f32 v13, v15, v14, v13
	s_delay_alu instid0(VALU_DEP_1) | instskip(NEXT) | instid1(VALU_DEP_1)
	v_fma_f32 v13, v13, v13, 1.0
	v_mul_f32_e32 v15, 0x4f800000, v13
	v_cmp_gt_f32_e32 vcc_lo, 0xf800000, v13
	s_delay_alu instid0(VALU_DEP_2) | instskip(NEXT) | instid1(VALU_DEP_1)
	v_cndmask_b32_e32 v13, v13, v15, vcc_lo
	v_sqrt_f32_e32 v15, v13
	s_waitcnt_depctr 0xfff
	v_add_nc_u32_e32 v16, -1, v15
	v_add_nc_u32_e32 v17, 1, v15
	s_delay_alu instid0(VALU_DEP_2) | instskip(NEXT) | instid1(VALU_DEP_2)
	v_fma_f32 v18, -v16, v15, v13
	v_fma_f32 v19, -v17, v15, v13
	s_delay_alu instid0(VALU_DEP_2) | instskip(NEXT) | instid1(VALU_DEP_1)
	v_cmp_ge_f32_e64 s1, 0, v18
	v_cndmask_b32_e64 v15, v15, v16, s1
	s_delay_alu instid0(VALU_DEP_3) | instskip(NEXT) | instid1(VALU_DEP_1)
	v_cmp_lt_f32_e64 s1, 0, v19
	v_cndmask_b32_e64 v15, v15, v17, s1
	s_delay_alu instid0(VALU_DEP_1) | instskip(NEXT) | instid1(VALU_DEP_1)
	v_mul_f32_e32 v16, 0x37800000, v15
	v_cndmask_b32_e32 v15, v15, v16, vcc_lo
	v_cmp_class_f32_e64 vcc_lo, v13, 0x260
	s_delay_alu instid0(VALU_DEP_2) | instskip(NEXT) | instid1(VALU_DEP_1)
	v_cndmask_b32_e32 v13, v15, v13, vcc_lo
	v_mul_f32_e32 v15, v14, v13
.LBB46_17:                              ;   in Loop: Header=BB46_4 Depth=1
	s_or_b32 exec_lo, exec_lo, s7
                                        ; implicit-def: $vgpr13
                                        ; implicit-def: $vgpr14
	s_and_not1_saveexec_b32 s6, s6
	s_cbranch_execz .LBB46_14
.LBB46_18:                              ;   in Loop: Header=BB46_4 Depth=1
	v_div_scale_f32 v15, null, v13, v13, v14
	v_div_scale_f32 v18, vcc_lo, v14, v13, v14
	s_delay_alu instid0(VALU_DEP_2) | instskip(SKIP_2) | instid1(VALU_DEP_1)
	v_rcp_f32_e32 v16, v15
	s_waitcnt_depctr 0xfff
	v_fma_f32 v17, -v15, v16, 1.0
	v_fmac_f32_e32 v16, v17, v16
	s_delay_alu instid0(VALU_DEP_1) | instskip(NEXT) | instid1(VALU_DEP_1)
	v_mul_f32_e32 v17, v18, v16
	v_fma_f32 v19, -v15, v17, v18
	s_delay_alu instid0(VALU_DEP_1) | instskip(NEXT) | instid1(VALU_DEP_1)
	v_fmac_f32_e32 v17, v19, v16
	v_fma_f32 v15, -v15, v17, v18
	s_delay_alu instid0(VALU_DEP_1) | instskip(NEXT) | instid1(VALU_DEP_1)
	v_div_fmas_f32 v15, v15, v16, v17
	v_div_fixup_f32 v14, v15, v13, v14
	s_delay_alu instid0(VALU_DEP_1) | instskip(NEXT) | instid1(VALU_DEP_1)
	v_fma_f32 v14, v14, v14, 1.0
	v_mul_f32_e32 v15, 0x4f800000, v14
	v_cmp_gt_f32_e32 vcc_lo, 0xf800000, v14
	s_delay_alu instid0(VALU_DEP_2) | instskip(NEXT) | instid1(VALU_DEP_1)
	v_cndmask_b32_e32 v14, v14, v15, vcc_lo
	v_sqrt_f32_e32 v15, v14
	s_waitcnt_depctr 0xfff
	v_add_nc_u32_e32 v16, -1, v15
	v_add_nc_u32_e32 v17, 1, v15
	s_delay_alu instid0(VALU_DEP_2) | instskip(NEXT) | instid1(VALU_DEP_2)
	v_fma_f32 v18, -v16, v15, v14
	v_fma_f32 v19, -v17, v15, v14
	s_delay_alu instid0(VALU_DEP_2) | instskip(NEXT) | instid1(VALU_DEP_1)
	v_cmp_ge_f32_e64 s1, 0, v18
	v_cndmask_b32_e64 v15, v15, v16, s1
	s_delay_alu instid0(VALU_DEP_3) | instskip(NEXT) | instid1(VALU_DEP_1)
	v_cmp_lt_f32_e64 s1, 0, v19
	v_cndmask_b32_e64 v15, v15, v17, s1
	s_delay_alu instid0(VALU_DEP_1) | instskip(NEXT) | instid1(VALU_DEP_1)
	v_mul_f32_e32 v16, 0x37800000, v15
	v_cndmask_b32_e32 v15, v15, v16, vcc_lo
	v_cmp_class_f32_e64 vcc_lo, v14, 0x260
	s_delay_alu instid0(VALU_DEP_2) | instskip(NEXT) | instid1(VALU_DEP_1)
	v_cndmask_b32_e32 v14, v15, v14, vcc_lo
	v_mul_f32_e32 v15, v13, v14
	s_or_b32 exec_lo, exec_lo, s6
	s_delay_alu instid0(VALU_DEP_1) | instskip(NEXT) | instid1(VALU_DEP_1)
	v_cmp_class_f32_e64 s6, v15, 0x1f8
	s_and_saveexec_b32 s1, s6
	s_cbranch_execz .LBB46_3
.LBB46_19:                              ;   in Loop: Header=BB46_4 Depth=1
	v_add_co_u32 v9, vcc_lo, s18, v9
	v_add_co_ci_u32_e32 v10, vcc_lo, s19, v10, vcc_lo
	global_store_b64 v[9:10], v[11:12], off
	s_branch .LBB46_3
.LBB46_20:
	s_or_b32 exec_lo, exec_lo, s4
	v_or_b32_e32 v14, 0x200, v1
	s_delay_alu instid0(VALU_DEP_1)
	v_cmp_gt_i32_e32 vcc_lo, s3, v14
	s_and_b32 exec_lo, exec_lo, vcc_lo
	s_cbranch_execz .LBB46_40
; %bb.21:
	global_load_b32 v1, v[4:5], off offset:2048
	global_load_b32 v4, v[6:7], off offset:2048
	s_waitcnt vmcnt(1)
	v_subrev_nc_u32_e32 v15, s2, v1
	s_waitcnt vmcnt(0)
	v_add_nc_u32_e32 v0, v0, v4
	s_delay_alu instid0(VALU_DEP_1)
	v_cmp_lt_i32_e32 vcc_lo, v0, v15
	s_and_b32 exec_lo, exec_lo, vcc_lo
	s_cbranch_execz .LBB46_40
; %bb.22:
	v_add_co_u32 v4, vcc_lo, s22, v2
	v_add_co_ci_u32_e32 v5, vcc_lo, s23, v3, vcc_lo
	v_add_co_u32 v1, vcc_lo, s20, v2
	v_add_co_ci_u32_e32 v2, vcc_lo, s21, v3, vcc_lo
	s_mov_b32 s3, 0
	global_load_b32 v3, v[4:5], off offset:2048
	global_load_b32 v1, v[1:2], off offset:2048
	s_waitcnt vmcnt(1)
	v_subrev_nc_u32_e32 v16, s2, v3
	s_waitcnt vmcnt(0)
	v_cmp_lt_i32_e64 s0, v1, v3
	v_subrev_nc_u32_e32 v17, s2, v1
	s_branch .LBB46_24
.LBB46_23:                              ;   in Loop: Header=BB46_24 Depth=1
	s_or_b32 exec_lo, exec_lo, s1
	v_add_nc_u32_e32 v0, 2, v0
	s_delay_alu instid0(VALU_DEP_1) | instskip(SKIP_1) | instid1(SALU_CYCLE_1)
	v_cmp_ge_i32_e32 vcc_lo, v0, v15
	s_or_b32 s3, vcc_lo, s3
	s_and_not1_b32 exec_lo, exec_lo, s3
	s_cbranch_execz .LBB46_40
.LBB46_24:                              ; =>This Loop Header: Depth=1
                                        ;     Child Loop BB46_27 Depth 2
	v_ashrrev_i32_e32 v1, 31, v0
	v_dual_mov_b32 v18, 0 :: v_dual_mov_b32 v19, 0
	s_delay_alu instid0(VALU_DEP_2) | instskip(NEXT) | instid1(VALU_DEP_1)
	v_lshlrev_b64 v[2:3], 2, v[0:1]
	v_add_co_u32 v2, vcc_lo, s8, v2
	s_delay_alu instid0(VALU_DEP_2) | instskip(SKIP_4) | instid1(VALU_DEP_2)
	v_add_co_ci_u32_e32 v3, vcc_lo, s9, v3, vcc_lo
	global_load_b32 v2, v[2:3], off
	s_waitcnt vmcnt(0)
	v_subrev_nc_u32_e32 v5, s2, v2
	v_lshlrev_b64 v[1:2], 3, v[0:1]
	v_ashrrev_i32_e32 v6, 31, v5
	s_delay_alu instid0(VALU_DEP_1) | instskip(NEXT) | instid1(VALU_DEP_1)
	v_lshlrev_b64 v[3:4], 2, v[5:6]
	v_add_co_u32 v6, vcc_lo, s22, v3
	s_delay_alu instid0(VALU_DEP_2)
	v_add_co_ci_u32_e32 v7, vcc_lo, s23, v4, vcc_lo
	v_add_co_u32 v8, vcc_lo, s12, v3
	v_add_co_ci_u32_e32 v9, vcc_lo, s13, v4, vcc_lo
	global_load_b32 v6, v[6:7], off
	v_add_co_u32 v3, vcc_lo, s26, v3
	v_add_co_ci_u32_e32 v4, vcc_lo, s27, v4, vcc_lo
	v_add_co_u32 v10, vcc_lo, s10, v1
	v_add_co_ci_u32_e32 v11, vcc_lo, s11, v2, vcc_lo
	global_load_b32 v8, v[8:9], off
	global_load_b32 v9, v[3:4], off
	s_waitcnt vmcnt(2)
	v_subrev_nc_u32_e32 v6, s2, v6
	s_delay_alu instid0(VALU_DEP_1) | instskip(NEXT) | instid1(VALU_DEP_1)
	v_ashrrev_i32_e32 v7, 31, v6
	v_lshlrev_b64 v[6:7], 3, v[6:7]
	s_delay_alu instid0(VALU_DEP_1) | instskip(NEXT) | instid1(VALU_DEP_2)
	v_add_co_u32 v6, vcc_lo, s18, v6
	v_add_co_ci_u32_e32 v7, vcc_lo, s19, v7, vcc_lo
	s_waitcnt vmcnt(0)
	v_cmp_lt_i32_e32 vcc_lo, v9, v8
	global_load_b64 v[3:4], v[10:11], off
	global_load_b64 v[6:7], v[6:7], off
	s_and_b32 s1, s0, vcc_lo
	s_delay_alu instid0(SALU_CYCLE_1)
	s_and_saveexec_b32 s4, s1
	s_cbranch_execz .LBB46_30
; %bb.25:                               ;   in Loop: Header=BB46_24 Depth=1
	v_subrev_nc_u32_e32 v20, s2, v8
	v_subrev_nc_u32_e32 v8, s2, v9
	v_dual_mov_b32 v18, 0 :: v_dual_mov_b32 v19, 0
	v_mov_b32_e32 v10, v17
	s_mov_b32 s5, 0
	s_branch .LBB46_27
.LBB46_26:                              ;   in Loop: Header=BB46_27 Depth=2
	s_or_b32 exec_lo, exec_lo, s1
	v_cmp_le_i32_e32 vcc_lo, v9, v21
	v_add_co_ci_u32_e32 v10, vcc_lo, 0, v10, vcc_lo
	v_cmp_ge_i32_e32 vcc_lo, v9, v21
	v_add_co_ci_u32_e32 v8, vcc_lo, 0, v8, vcc_lo
	s_delay_alu instid0(VALU_DEP_3) | instskip(NEXT) | instid1(VALU_DEP_2)
	v_cmp_ge_i32_e32 vcc_lo, v10, v16
	v_cmp_ge_i32_e64 s1, v8, v20
	s_delay_alu instid0(VALU_DEP_1) | instskip(NEXT) | instid1(SALU_CYCLE_1)
	s_or_b32 s1, vcc_lo, s1
	s_and_b32 s1, exec_lo, s1
	s_delay_alu instid0(SALU_CYCLE_1) | instskip(NEXT) | instid1(SALU_CYCLE_1)
	s_or_b32 s5, s1, s5
	s_and_not1_b32 exec_lo, exec_lo, s5
	s_cbranch_execz .LBB46_29
.LBB46_27:                              ;   Parent Loop BB46_24 Depth=1
                                        ; =>  This Inner Loop Header: Depth=2
	s_delay_alu instid0(VALU_DEP_1) | instskip(SKIP_2) | instid1(VALU_DEP_2)
	v_ashrrev_i32_e32 v11, 31, v10
	v_ashrrev_i32_e32 v9, 31, v8
	s_mov_b32 s1, exec_lo
	v_lshlrev_b64 v[21:22], 2, v[10:11]
	s_delay_alu instid0(VALU_DEP_2) | instskip(NEXT) | instid1(VALU_DEP_2)
	v_lshlrev_b64 v[12:13], 2, v[8:9]
	v_add_co_u32 v21, vcc_lo, s24, v21
	s_delay_alu instid0(VALU_DEP_3) | instskip(NEXT) | instid1(VALU_DEP_3)
	v_add_co_ci_u32_e32 v22, vcc_lo, s25, v22, vcc_lo
	v_add_co_u32 v23, vcc_lo, s14, v12
	s_delay_alu instid0(VALU_DEP_4)
	v_add_co_ci_u32_e32 v24, vcc_lo, s15, v13, vcc_lo
	global_load_b32 v9, v[21:22], off
	global_load_b32 v21, v[23:24], off
	s_waitcnt vmcnt(0)
	v_cmpx_eq_u32_e64 v9, v21
	s_cbranch_execz .LBB46_26
; %bb.28:                               ;   in Loop: Header=BB46_27 Depth=2
	v_add_co_u32 v12, vcc_lo, s16, v12
	v_add_co_ci_u32_e32 v13, vcc_lo, s17, v13, vcc_lo
	v_lshlrev_b64 v[22:23], 3, v[10:11]
	global_load_b32 v12, v[12:13], off
	v_add_co_u32 v22, vcc_lo, s18, v22
	v_add_co_ci_u32_e32 v23, vcc_lo, s19, v23, vcc_lo
	s_waitcnt vmcnt(0)
	v_ashrrev_i32_e32 v13, 31, v12
	s_delay_alu instid0(VALU_DEP_1) | instskip(NEXT) | instid1(VALU_DEP_1)
	v_lshlrev_b64 v[11:12], 3, v[12:13]
	v_add_co_u32 v11, vcc_lo, s18, v11
	s_delay_alu instid0(VALU_DEP_2)
	v_add_co_ci_u32_e32 v12, vcc_lo, s19, v12, vcc_lo
	s_clause 0x1
	global_load_b64 v[22:23], v[22:23], off
	global_load_b64 v[11:12], v[11:12], off
	s_waitcnt vmcnt(0)
	v_fmac_f32_e32 v18, v22, v11
	v_fmac_f32_e32 v19, v23, v11
	s_delay_alu instid0(VALU_DEP_2) | instskip(NEXT) | instid1(VALU_DEP_2)
	v_fma_f32 v18, -v23, v12, v18
	v_fmac_f32_e32 v19, v22, v12
	s_branch .LBB46_26
.LBB46_29:                              ;   in Loop: Header=BB46_24 Depth=1
	s_or_b32 exec_lo, exec_lo, s5
.LBB46_30:                              ;   in Loop: Header=BB46_24 Depth=1
	s_delay_alu instid0(SALU_CYCLE_1)
	s_or_b32 exec_lo, exec_lo, s4
	s_waitcnt vmcnt(1)
	v_dual_sub_f32 v3, v3, v18 :: v_dual_sub_f32 v4, v4, v19
	s_mov_b32 s1, exec_lo
	v_cmpx_gt_i32_e64 v14, v5
	s_cbranch_execz .LBB46_32
; %bb.31:                               ;   in Loop: Header=BB46_24 Depth=1
	s_waitcnt vmcnt(0)
	v_mul_f32_e32 v5, v7, v7
	s_delay_alu instid0(VALU_DEP_1) | instskip(NEXT) | instid1(VALU_DEP_1)
	v_fmac_f32_e32 v5, v6, v6
	v_div_scale_f32 v8, null, v5, v5, 1.0
	v_div_scale_f32 v11, vcc_lo, 1.0, v5, 1.0
	s_delay_alu instid0(VALU_DEP_2) | instskip(SKIP_2) | instid1(VALU_DEP_1)
	v_rcp_f32_e32 v9, v8
	s_waitcnt_depctr 0xfff
	v_fma_f32 v10, -v8, v9, 1.0
	v_fmac_f32_e32 v9, v10, v9
	s_delay_alu instid0(VALU_DEP_1) | instskip(NEXT) | instid1(VALU_DEP_1)
	v_mul_f32_e32 v10, v11, v9
	v_fma_f32 v12, -v8, v10, v11
	s_delay_alu instid0(VALU_DEP_1) | instskip(NEXT) | instid1(VALU_DEP_1)
	v_fmac_f32_e32 v10, v12, v9
	v_fma_f32 v8, -v8, v10, v11
	s_delay_alu instid0(VALU_DEP_1) | instskip(SKIP_2) | instid1(VALU_DEP_3)
	v_div_fmas_f32 v8, v8, v9, v10
	v_mul_f32_e32 v9, v7, v4
	v_mul_f32_e64 v7, v7, -v3
	v_div_fixup_f32 v5, v8, v5, 1.0
	s_delay_alu instid0(VALU_DEP_3) | instskip(NEXT) | instid1(VALU_DEP_3)
	v_fmac_f32_e32 v9, v3, v6
	v_fmac_f32_e32 v7, v4, v6
	s_delay_alu instid0(VALU_DEP_2) | instskip(NEXT) | instid1(VALU_DEP_2)
	v_mul_f32_e32 v3, v5, v9
	v_mul_f32_e32 v4, v5, v7
.LBB46_32:                              ;   in Loop: Header=BB46_24 Depth=1
	s_or_b32 exec_lo, exec_lo, s1
	s_delay_alu instid0(VALU_DEP_2)
	v_cmp_gt_f32_e32 vcc_lo, 0, v3
                                        ; implicit-def: $vgpr7
	s_mov_b32 s1, exec_lo
	v_cndmask_b32_e64 v5, v3, -v3, vcc_lo
	v_cmp_gt_f32_e32 vcc_lo, 0, v4
	s_waitcnt vmcnt(0)
	v_cndmask_b32_e64 v6, v4, -v4, vcc_lo
	s_delay_alu instid0(VALU_DEP_1)
	v_cmpx_ngt_f32_e32 v5, v6
	s_xor_b32 s4, exec_lo, s1
	s_cbranch_execnz .LBB46_35
; %bb.33:                               ;   in Loop: Header=BB46_24 Depth=1
	s_and_not1_saveexec_b32 s4, s4
	s_cbranch_execnz .LBB46_38
.LBB46_34:                              ;   in Loop: Header=BB46_24 Depth=1
	s_or_b32 exec_lo, exec_lo, s4
	v_cmp_class_f32_e64 s4, v7, 0x1f8
	s_delay_alu instid0(VALU_DEP_1)
	s_and_saveexec_b32 s1, s4
	s_cbranch_execz .LBB46_23
	s_branch .LBB46_39
.LBB46_35:                              ;   in Loop: Header=BB46_24 Depth=1
	v_mov_b32_e32 v7, 0
	s_mov_b32 s5, exec_lo
	v_cmpx_neq_f32_e32 0, v4
	s_cbranch_execz .LBB46_37
; %bb.36:                               ;   in Loop: Header=BB46_24 Depth=1
	v_div_scale_f32 v7, null, v6, v6, v5
	v_div_scale_f32 v10, vcc_lo, v5, v6, v5
	s_delay_alu instid0(VALU_DEP_2) | instskip(SKIP_2) | instid1(VALU_DEP_1)
	v_rcp_f32_e32 v8, v7
	s_waitcnt_depctr 0xfff
	v_fma_f32 v9, -v7, v8, 1.0
	v_fmac_f32_e32 v8, v9, v8
	s_delay_alu instid0(VALU_DEP_1) | instskip(NEXT) | instid1(VALU_DEP_1)
	v_mul_f32_e32 v9, v10, v8
	v_fma_f32 v11, -v7, v9, v10
	s_delay_alu instid0(VALU_DEP_1) | instskip(NEXT) | instid1(VALU_DEP_1)
	v_fmac_f32_e32 v9, v11, v8
	v_fma_f32 v7, -v7, v9, v10
	s_delay_alu instid0(VALU_DEP_1) | instskip(NEXT) | instid1(VALU_DEP_1)
	v_div_fmas_f32 v7, v7, v8, v9
	v_div_fixup_f32 v5, v7, v6, v5
	s_delay_alu instid0(VALU_DEP_1) | instskip(NEXT) | instid1(VALU_DEP_1)
	v_fma_f32 v5, v5, v5, 1.0
	v_mul_f32_e32 v7, 0x4f800000, v5
	v_cmp_gt_f32_e32 vcc_lo, 0xf800000, v5
	s_delay_alu instid0(VALU_DEP_2) | instskip(NEXT) | instid1(VALU_DEP_1)
	v_cndmask_b32_e32 v5, v5, v7, vcc_lo
	v_sqrt_f32_e32 v7, v5
	s_waitcnt_depctr 0xfff
	v_add_nc_u32_e32 v8, -1, v7
	v_add_nc_u32_e32 v9, 1, v7
	s_delay_alu instid0(VALU_DEP_2) | instskip(NEXT) | instid1(VALU_DEP_2)
	v_fma_f32 v10, -v8, v7, v5
	v_fma_f32 v11, -v9, v7, v5
	s_delay_alu instid0(VALU_DEP_2) | instskip(NEXT) | instid1(VALU_DEP_1)
	v_cmp_ge_f32_e64 s1, 0, v10
	v_cndmask_b32_e64 v7, v7, v8, s1
	s_delay_alu instid0(VALU_DEP_3) | instskip(NEXT) | instid1(VALU_DEP_1)
	v_cmp_lt_f32_e64 s1, 0, v11
	v_cndmask_b32_e64 v7, v7, v9, s1
	s_delay_alu instid0(VALU_DEP_1) | instskip(NEXT) | instid1(VALU_DEP_1)
	v_mul_f32_e32 v8, 0x37800000, v7
	v_cndmask_b32_e32 v7, v7, v8, vcc_lo
	v_cmp_class_f32_e64 vcc_lo, v5, 0x260
	s_delay_alu instid0(VALU_DEP_2) | instskip(NEXT) | instid1(VALU_DEP_1)
	v_cndmask_b32_e32 v5, v7, v5, vcc_lo
	v_mul_f32_e32 v7, v6, v5
.LBB46_37:                              ;   in Loop: Header=BB46_24 Depth=1
	s_or_b32 exec_lo, exec_lo, s5
                                        ; implicit-def: $vgpr5
                                        ; implicit-def: $vgpr6
	s_and_not1_saveexec_b32 s4, s4
	s_cbranch_execz .LBB46_34
.LBB46_38:                              ;   in Loop: Header=BB46_24 Depth=1
	v_div_scale_f32 v7, null, v5, v5, v6
	v_div_scale_f32 v10, vcc_lo, v6, v5, v6
	s_delay_alu instid0(VALU_DEP_2) | instskip(SKIP_2) | instid1(VALU_DEP_1)
	v_rcp_f32_e32 v8, v7
	s_waitcnt_depctr 0xfff
	v_fma_f32 v9, -v7, v8, 1.0
	v_fmac_f32_e32 v8, v9, v8
	s_delay_alu instid0(VALU_DEP_1) | instskip(NEXT) | instid1(VALU_DEP_1)
	v_mul_f32_e32 v9, v10, v8
	v_fma_f32 v11, -v7, v9, v10
	s_delay_alu instid0(VALU_DEP_1) | instskip(NEXT) | instid1(VALU_DEP_1)
	v_fmac_f32_e32 v9, v11, v8
	v_fma_f32 v7, -v7, v9, v10
	s_delay_alu instid0(VALU_DEP_1) | instskip(NEXT) | instid1(VALU_DEP_1)
	v_div_fmas_f32 v7, v7, v8, v9
	v_div_fixup_f32 v6, v7, v5, v6
	s_delay_alu instid0(VALU_DEP_1) | instskip(NEXT) | instid1(VALU_DEP_1)
	v_fma_f32 v6, v6, v6, 1.0
	v_mul_f32_e32 v7, 0x4f800000, v6
	v_cmp_gt_f32_e32 vcc_lo, 0xf800000, v6
	s_delay_alu instid0(VALU_DEP_2) | instskip(NEXT) | instid1(VALU_DEP_1)
	v_cndmask_b32_e32 v6, v6, v7, vcc_lo
	v_sqrt_f32_e32 v7, v6
	s_waitcnt_depctr 0xfff
	v_add_nc_u32_e32 v8, -1, v7
	v_add_nc_u32_e32 v9, 1, v7
	s_delay_alu instid0(VALU_DEP_2) | instskip(NEXT) | instid1(VALU_DEP_2)
	v_fma_f32 v10, -v8, v7, v6
	v_fma_f32 v11, -v9, v7, v6
	s_delay_alu instid0(VALU_DEP_2) | instskip(NEXT) | instid1(VALU_DEP_1)
	v_cmp_ge_f32_e64 s1, 0, v10
	v_cndmask_b32_e64 v7, v7, v8, s1
	s_delay_alu instid0(VALU_DEP_3) | instskip(NEXT) | instid1(VALU_DEP_1)
	v_cmp_lt_f32_e64 s1, 0, v11
	v_cndmask_b32_e64 v7, v7, v9, s1
	s_delay_alu instid0(VALU_DEP_1) | instskip(NEXT) | instid1(VALU_DEP_1)
	v_mul_f32_e32 v8, 0x37800000, v7
	v_cndmask_b32_e32 v7, v7, v8, vcc_lo
	v_cmp_class_f32_e64 vcc_lo, v6, 0x260
	s_delay_alu instid0(VALU_DEP_2) | instskip(NEXT) | instid1(VALU_DEP_1)
	v_cndmask_b32_e32 v6, v7, v6, vcc_lo
	v_mul_f32_e32 v7, v5, v6
	s_or_b32 exec_lo, exec_lo, s4
	s_delay_alu instid0(VALU_DEP_1) | instskip(NEXT) | instid1(VALU_DEP_1)
	v_cmp_class_f32_e64 s4, v7, 0x1f8
	s_and_saveexec_b32 s1, s4
	s_cbranch_execz .LBB46_23
.LBB46_39:                              ;   in Loop: Header=BB46_24 Depth=1
	v_add_co_u32 v1, vcc_lo, s18, v1
	v_add_co_ci_u32_e32 v2, vcc_lo, s19, v2, vcc_lo
	global_store_b64 v[1:2], v[3:4], off
	s_branch .LBB46_23
.LBB46_40:
	s_nop 0
	s_sendmsg sendmsg(MSG_DEALLOC_VGPRS)
	s_endpgm
	.section	.rodata,"a",@progbits
	.p2align	6, 0x0
	.amdhsa_kernel _ZN9rocsparseL16kernel_calculateILi1024ELi2ELb0E21rocsparse_complex_numIfEiiEEvT4_T3_PKS4_S6_PKS3_PKT2_21rocsparse_index_base_S6_S6_S8_S6_S6_S8_S6_PS9_PNS_15floating_traitsIS9_E6data_tEPKSG_
		.amdhsa_group_segment_fixed_size 0
		.amdhsa_private_segment_fixed_size 0
		.amdhsa_kernarg_size 128
		.amdhsa_user_sgpr_count 15
		.amdhsa_user_sgpr_dispatch_ptr 0
		.amdhsa_user_sgpr_queue_ptr 0
		.amdhsa_user_sgpr_kernarg_segment_ptr 1
		.amdhsa_user_sgpr_dispatch_id 0
		.amdhsa_user_sgpr_private_segment_size 0
		.amdhsa_wavefront_size32 1
		.amdhsa_uses_dynamic_stack 0
		.amdhsa_enable_private_segment 0
		.amdhsa_system_sgpr_workgroup_id_x 1
		.amdhsa_system_sgpr_workgroup_id_y 0
		.amdhsa_system_sgpr_workgroup_id_z 0
		.amdhsa_system_sgpr_workgroup_info 0
		.amdhsa_system_vgpr_workitem_id 0
		.amdhsa_next_free_vgpr 32
		.amdhsa_next_free_sgpr 28
		.amdhsa_reserve_vcc 1
		.amdhsa_float_round_mode_32 0
		.amdhsa_float_round_mode_16_64 0
		.amdhsa_float_denorm_mode_32 3
		.amdhsa_float_denorm_mode_16_64 3
		.amdhsa_dx10_clamp 1
		.amdhsa_ieee_mode 1
		.amdhsa_fp16_overflow 0
		.amdhsa_workgroup_processor_mode 1
		.amdhsa_memory_ordered 1
		.amdhsa_forward_progress 0
		.amdhsa_shared_vgpr_count 0
		.amdhsa_exception_fp_ieee_invalid_op 0
		.amdhsa_exception_fp_denorm_src 0
		.amdhsa_exception_fp_ieee_div_zero 0
		.amdhsa_exception_fp_ieee_overflow 0
		.amdhsa_exception_fp_ieee_underflow 0
		.amdhsa_exception_fp_ieee_inexact 0
		.amdhsa_exception_int_div_zero 0
	.end_amdhsa_kernel
	.section	.text._ZN9rocsparseL16kernel_calculateILi1024ELi2ELb0E21rocsparse_complex_numIfEiiEEvT4_T3_PKS4_S6_PKS3_PKT2_21rocsparse_index_base_S6_S6_S8_S6_S6_S8_S6_PS9_PNS_15floating_traitsIS9_E6data_tEPKSG_,"axG",@progbits,_ZN9rocsparseL16kernel_calculateILi1024ELi2ELb0E21rocsparse_complex_numIfEiiEEvT4_T3_PKS4_S6_PKS3_PKT2_21rocsparse_index_base_S6_S6_S8_S6_S6_S8_S6_PS9_PNS_15floating_traitsIS9_E6data_tEPKSG_,comdat
.Lfunc_end46:
	.size	_ZN9rocsparseL16kernel_calculateILi1024ELi2ELb0E21rocsparse_complex_numIfEiiEEvT4_T3_PKS4_S6_PKS3_PKT2_21rocsparse_index_base_S6_S6_S8_S6_S6_S8_S6_PS9_PNS_15floating_traitsIS9_E6data_tEPKSG_, .Lfunc_end46-_ZN9rocsparseL16kernel_calculateILi1024ELi2ELb0E21rocsparse_complex_numIfEiiEEvT4_T3_PKS4_S6_PKS3_PKT2_21rocsparse_index_base_S6_S6_S8_S6_S6_S8_S6_PS9_PNS_15floating_traitsIS9_E6data_tEPKSG_
                                        ; -- End function
	.section	.AMDGPU.csdata,"",@progbits
; Kernel info:
; codeLenInByte = 3288
; NumSgprs: 30
; NumVgprs: 32
; ScratchSize: 0
; MemoryBound: 0
; FloatMode: 240
; IeeeMode: 1
; LDSByteSize: 0 bytes/workgroup (compile time only)
; SGPRBlocks: 3
; VGPRBlocks: 3
; NumSGPRsForWavesPerEU: 30
; NumVGPRsForWavesPerEU: 32
; Occupancy: 16
; WaveLimiterHint : 1
; COMPUTE_PGM_RSRC2:SCRATCH_EN: 0
; COMPUTE_PGM_RSRC2:USER_SGPR: 15
; COMPUTE_PGM_RSRC2:TRAP_HANDLER: 0
; COMPUTE_PGM_RSRC2:TGID_X_EN: 1
; COMPUTE_PGM_RSRC2:TGID_Y_EN: 0
; COMPUTE_PGM_RSRC2:TGID_Z_EN: 0
; COMPUTE_PGM_RSRC2:TIDIG_COMP_CNT: 0
	.section	.text._ZN9rocsparseL16kernel_calculateILi1024ELi4ELb0E21rocsparse_complex_numIfEiiEEvT4_T3_PKS4_S6_PKS3_PKT2_21rocsparse_index_base_S6_S6_S8_S6_S6_S8_S6_PS9_PNS_15floating_traitsIS9_E6data_tEPKSG_,"axG",@progbits,_ZN9rocsparseL16kernel_calculateILi1024ELi4ELb0E21rocsparse_complex_numIfEiiEEvT4_T3_PKS4_S6_PKS3_PKT2_21rocsparse_index_base_S6_S6_S8_S6_S6_S8_S6_PS9_PNS_15floating_traitsIS9_E6data_tEPKSG_,comdat
	.globl	_ZN9rocsparseL16kernel_calculateILi1024ELi4ELb0E21rocsparse_complex_numIfEiiEEvT4_T3_PKS4_S6_PKS3_PKT2_21rocsparse_index_base_S6_S6_S8_S6_S6_S8_S6_PS9_PNS_15floating_traitsIS9_E6data_tEPKSG_ ; -- Begin function _ZN9rocsparseL16kernel_calculateILi1024ELi4ELb0E21rocsparse_complex_numIfEiiEEvT4_T3_PKS4_S6_PKS3_PKT2_21rocsparse_index_base_S6_S6_S8_S6_S6_S8_S6_PS9_PNS_15floating_traitsIS9_E6data_tEPKSG_
	.p2align	8
	.type	_ZN9rocsparseL16kernel_calculateILi1024ELi4ELb0E21rocsparse_complex_numIfEiiEEvT4_T3_PKS4_S6_PKS3_PKT2_21rocsparse_index_base_S6_S6_S8_S6_S6_S8_S6_PS9_PNS_15floating_traitsIS9_E6data_tEPKSG_,@function
_ZN9rocsparseL16kernel_calculateILi1024ELi4ELb0E21rocsparse_complex_numIfEiiEEvT4_T3_PKS4_S6_PKS3_PKT2_21rocsparse_index_base_S6_S6_S8_S6_S6_S8_S6_PS9_PNS_15floating_traitsIS9_E6data_tEPKSG_: ; @_ZN9rocsparseL16kernel_calculateILi1024ELi4ELb0E21rocsparse_complex_numIfEiiEEvT4_T3_PKS4_S6_PKS3_PKT2_21rocsparse_index_base_S6_S6_S8_S6_S6_S8_S6_PS9_PNS_15floating_traitsIS9_E6data_tEPKSG_
; %bb.0:
	s_load_b32 s2, s[0:1], 0x0
	v_lshrrev_b32_e32 v1, 2, v0
	s_mov_b32 s3, exec_lo
	s_delay_alu instid0(VALU_DEP_1) | instskip(SKIP_1) | instid1(VALU_DEP_1)
	v_lshl_or_b32 v15, s15, 10, v1
	s_waitcnt lgkmcnt(0)
	v_cmpx_gt_i32_e64 s2, v15
	s_cbranch_execz .LBB47_23
; %bb.1:
	s_clause 0x3
	s_load_b32 s3, s[0:1], 0x28
	s_load_b256 s[4:11], s[0:1], 0x50
	s_load_b256 s[12:19], s[0:1], 0x30
	;; [unrolled: 1-line block ×3, first 2 shown]
	v_and_b32_e32 v0, 3, v0
	s_mov_b32 s28, 0
	s_waitcnt lgkmcnt(0)
	s_delay_alu instid0(VALU_DEP_1)
	v_subrev_nc_u32_e32 v16, s3, v0
	s_branch .LBB47_3
.LBB47_2:                               ;   in Loop: Header=BB47_3 Depth=1
	s_or_b32 exec_lo, exec_lo, s29
	s_add_i32 s28, s28, 1
	s_delay_alu instid0(SALU_CYCLE_1)
	s_cmp_lg_u32 s28, 4
	s_cbranch_scc0 .LBB47_23
.LBB47_3:                               ; =>This Loop Header: Depth=1
                                        ;     Child Loop BB47_7 Depth 2
                                        ;       Child Loop BB47_10 Depth 3
	v_lshl_add_u32 v0, s28, 8, v15
	s_mov_b32 s29, exec_lo
	s_delay_alu instid0(VALU_DEP_1)
	v_cmpx_gt_i32_e64 s2, v0
	s_cbranch_execz .LBB47_2
; %bb.4:                                ;   in Loop: Header=BB47_3 Depth=1
	v_ashrrev_i32_e32 v1, 31, v0
	s_delay_alu instid0(VALU_DEP_1) | instskip(NEXT) | instid1(VALU_DEP_1)
	v_lshlrev_b64 v[2:3], 2, v[0:1]
	v_add_co_u32 v4, vcc_lo, s22, v2
	s_delay_alu instid0(VALU_DEP_2)
	v_add_co_ci_u32_e32 v5, vcc_lo, s23, v3, vcc_lo
	v_add_co_u32 v6, vcc_lo, s20, v2
	v_add_co_ci_u32_e32 v7, vcc_lo, s21, v3, vcc_lo
	global_load_b32 v1, v[4:5], off
	global_load_b32 v4, v[6:7], off
	s_waitcnt vmcnt(1)
	v_subrev_nc_u32_e32 v17, s3, v1
	s_waitcnt vmcnt(0)
	v_add_nc_u32_e32 v1, v16, v4
	s_delay_alu instid0(VALU_DEP_1)
	v_cmp_lt_i32_e32 vcc_lo, v1, v17
	s_and_b32 exec_lo, exec_lo, vcc_lo
	s_cbranch_execz .LBB47_2
; %bb.5:                                ;   in Loop: Header=BB47_3 Depth=1
	v_add_co_u32 v4, vcc_lo, s14, v2
	v_add_co_ci_u32_e32 v5, vcc_lo, s15, v3, vcc_lo
	v_add_co_u32 v2, vcc_lo, s12, v2
	v_add_co_ci_u32_e32 v3, vcc_lo, s13, v3, vcc_lo
	s_mov_b32 s30, 0
	global_load_b32 v4, v[4:5], off
	global_load_b32 v2, v[2:3], off
	s_waitcnt vmcnt(1)
	v_subrev_nc_u32_e32 v18, s3, v4
	s_waitcnt vmcnt(0)
	v_cmp_lt_i32_e64 s0, v2, v4
	v_subrev_nc_u32_e32 v19, s3, v2
	s_branch .LBB47_7
.LBB47_6:                               ;   in Loop: Header=BB47_7 Depth=2
	s_or_b32 exec_lo, exec_lo, s1
	v_add_nc_u32_e32 v1, 4, v1
	s_delay_alu instid0(VALU_DEP_1) | instskip(SKIP_1) | instid1(SALU_CYCLE_1)
	v_cmp_ge_i32_e32 vcc_lo, v1, v17
	s_or_b32 s30, vcc_lo, s30
	s_and_not1_b32 exec_lo, exec_lo, s30
	s_cbranch_execz .LBB47_2
.LBB47_7:                               ;   Parent Loop BB47_3 Depth=1
                                        ; =>  This Loop Header: Depth=2
                                        ;       Child Loop BB47_10 Depth 3
	v_ashrrev_i32_e32 v2, 31, v1
	v_dual_mov_b32 v20, 0 :: v_dual_mov_b32 v21, 0
	s_delay_alu instid0(VALU_DEP_2) | instskip(NEXT) | instid1(VALU_DEP_1)
	v_lshlrev_b64 v[3:4], 2, v[1:2]
	v_add_co_u32 v3, vcc_lo, s24, v3
	s_delay_alu instid0(VALU_DEP_2) | instskip(SKIP_4) | instid1(VALU_DEP_2)
	v_add_co_ci_u32_e32 v4, vcc_lo, s25, v4, vcc_lo
	global_load_b32 v3, v[3:4], off
	s_waitcnt vmcnt(0)
	v_subrev_nc_u32_e32 v6, s3, v3
	v_lshlrev_b64 v[2:3], 3, v[1:2]
	v_ashrrev_i32_e32 v7, 31, v6
	s_delay_alu instid0(VALU_DEP_1) | instskip(NEXT) | instid1(VALU_DEP_1)
	v_lshlrev_b64 v[4:5], 2, v[6:7]
	v_add_co_u32 v7, vcc_lo, s14, v4
	s_delay_alu instid0(VALU_DEP_2)
	v_add_co_ci_u32_e32 v8, vcc_lo, s15, v5, vcc_lo
	v_add_co_u32 v9, vcc_lo, s4, v4
	v_add_co_ci_u32_e32 v10, vcc_lo, s5, v5, vcc_lo
	global_load_b32 v7, v[7:8], off
	v_add_co_u32 v4, vcc_lo, s18, v4
	v_add_co_ci_u32_e32 v5, vcc_lo, s19, v5, vcc_lo
	v_add_co_u32 v11, vcc_lo, s26, v2
	v_add_co_ci_u32_e32 v12, vcc_lo, s27, v3, vcc_lo
	global_load_b32 v9, v[9:10], off
	global_load_b32 v10, v[4:5], off
	s_waitcnt vmcnt(2)
	v_subrev_nc_u32_e32 v7, s3, v7
	s_delay_alu instid0(VALU_DEP_1) | instskip(NEXT) | instid1(VALU_DEP_1)
	v_ashrrev_i32_e32 v8, 31, v7
	v_lshlrev_b64 v[7:8], 3, v[7:8]
	s_delay_alu instid0(VALU_DEP_1) | instskip(NEXT) | instid1(VALU_DEP_2)
	v_add_co_u32 v7, vcc_lo, s10, v7
	v_add_co_ci_u32_e32 v8, vcc_lo, s11, v8, vcc_lo
	s_waitcnt vmcnt(0)
	v_cmp_lt_i32_e32 vcc_lo, v10, v9
	global_load_b64 v[4:5], v[11:12], off
	global_load_b64 v[7:8], v[7:8], off
	s_and_b32 s1, s0, vcc_lo
	s_delay_alu instid0(SALU_CYCLE_1)
	s_and_saveexec_b32 s31, s1
	s_cbranch_execz .LBB47_13
; %bb.8:                                ;   in Loop: Header=BB47_7 Depth=2
	v_subrev_nc_u32_e32 v22, s3, v9
	v_subrev_nc_u32_e32 v9, s3, v10
	v_dual_mov_b32 v20, 0 :: v_dual_mov_b32 v11, v19
	v_mov_b32_e32 v21, 0
	s_mov_b32 s33, 0
	s_branch .LBB47_10
.LBB47_9:                               ;   in Loop: Header=BB47_10 Depth=3
	s_or_b32 exec_lo, exec_lo, s1
	v_cmp_le_i32_e32 vcc_lo, v10, v23
	v_add_co_ci_u32_e32 v11, vcc_lo, 0, v11, vcc_lo
	v_cmp_ge_i32_e32 vcc_lo, v10, v23
	v_add_co_ci_u32_e32 v9, vcc_lo, 0, v9, vcc_lo
	s_delay_alu instid0(VALU_DEP_3) | instskip(NEXT) | instid1(VALU_DEP_2)
	v_cmp_ge_i32_e32 vcc_lo, v11, v18
	v_cmp_ge_i32_e64 s1, v9, v22
	s_delay_alu instid0(VALU_DEP_1) | instskip(NEXT) | instid1(SALU_CYCLE_1)
	s_or_b32 s1, vcc_lo, s1
	s_and_b32 s1, exec_lo, s1
	s_delay_alu instid0(SALU_CYCLE_1) | instskip(NEXT) | instid1(SALU_CYCLE_1)
	s_or_b32 s33, s1, s33
	s_and_not1_b32 exec_lo, exec_lo, s33
	s_cbranch_execz .LBB47_12
.LBB47_10:                              ;   Parent Loop BB47_3 Depth=1
                                        ;     Parent Loop BB47_7 Depth=2
                                        ; =>    This Inner Loop Header: Depth=3
	s_delay_alu instid0(VALU_DEP_2) | instskip(SKIP_2) | instid1(VALU_DEP_2)
	v_ashrrev_i32_e32 v12, 31, v11
	v_ashrrev_i32_e32 v10, 31, v9
	s_mov_b32 s1, exec_lo
	v_lshlrev_b64 v[23:24], 2, v[11:12]
	s_delay_alu instid0(VALU_DEP_2) | instskip(NEXT) | instid1(VALU_DEP_2)
	v_lshlrev_b64 v[13:14], 2, v[9:10]
	v_add_co_u32 v23, vcc_lo, s16, v23
	s_delay_alu instid0(VALU_DEP_3) | instskip(NEXT) | instid1(VALU_DEP_3)
	v_add_co_ci_u32_e32 v24, vcc_lo, s17, v24, vcc_lo
	v_add_co_u32 v25, vcc_lo, s6, v13
	s_delay_alu instid0(VALU_DEP_4)
	v_add_co_ci_u32_e32 v26, vcc_lo, s7, v14, vcc_lo
	global_load_b32 v10, v[23:24], off
	global_load_b32 v23, v[25:26], off
	s_waitcnt vmcnt(0)
	v_cmpx_eq_u32_e64 v10, v23
	s_cbranch_execz .LBB47_9
; %bb.11:                               ;   in Loop: Header=BB47_10 Depth=3
	v_add_co_u32 v13, vcc_lo, s8, v13
	v_add_co_ci_u32_e32 v14, vcc_lo, s9, v14, vcc_lo
	v_lshlrev_b64 v[24:25], 3, v[11:12]
	global_load_b32 v13, v[13:14], off
	v_add_co_u32 v24, vcc_lo, s10, v24
	v_add_co_ci_u32_e32 v25, vcc_lo, s11, v25, vcc_lo
	s_waitcnt vmcnt(0)
	v_ashrrev_i32_e32 v14, 31, v13
	s_delay_alu instid0(VALU_DEP_1) | instskip(NEXT) | instid1(VALU_DEP_1)
	v_lshlrev_b64 v[12:13], 3, v[13:14]
	v_add_co_u32 v12, vcc_lo, s10, v12
	s_delay_alu instid0(VALU_DEP_2)
	v_add_co_ci_u32_e32 v13, vcc_lo, s11, v13, vcc_lo
	s_clause 0x1
	global_load_b64 v[24:25], v[24:25], off
	global_load_b64 v[12:13], v[12:13], off
	s_waitcnt vmcnt(0)
	v_fmac_f32_e32 v20, v24, v12
	v_fmac_f32_e32 v21, v25, v12
	s_delay_alu instid0(VALU_DEP_2) | instskip(NEXT) | instid1(VALU_DEP_2)
	v_fma_f32 v20, -v25, v13, v20
	v_fmac_f32_e32 v21, v24, v13
	s_branch .LBB47_9
.LBB47_12:                              ;   in Loop: Header=BB47_7 Depth=2
	s_or_b32 exec_lo, exec_lo, s33
.LBB47_13:                              ;   in Loop: Header=BB47_7 Depth=2
	s_delay_alu instid0(SALU_CYCLE_1)
	s_or_b32 exec_lo, exec_lo, s31
	s_waitcnt vmcnt(1)
	v_dual_sub_f32 v4, v4, v20 :: v_dual_sub_f32 v5, v5, v21
	s_mov_b32 s1, exec_lo
	v_cmpx_gt_i32_e64 v0, v6
	s_cbranch_execz .LBB47_15
; %bb.14:                               ;   in Loop: Header=BB47_7 Depth=2
	s_waitcnt vmcnt(0)
	v_mul_f32_e32 v6, v8, v8
	s_delay_alu instid0(VALU_DEP_1) | instskip(NEXT) | instid1(VALU_DEP_1)
	v_fmac_f32_e32 v6, v7, v7
	v_div_scale_f32 v9, null, v6, v6, 1.0
	v_div_scale_f32 v12, vcc_lo, 1.0, v6, 1.0
	s_delay_alu instid0(VALU_DEP_2) | instskip(SKIP_2) | instid1(VALU_DEP_1)
	v_rcp_f32_e32 v10, v9
	s_waitcnt_depctr 0xfff
	v_fma_f32 v11, -v9, v10, 1.0
	v_fmac_f32_e32 v10, v11, v10
	s_delay_alu instid0(VALU_DEP_1) | instskip(NEXT) | instid1(VALU_DEP_1)
	v_mul_f32_e32 v11, v12, v10
	v_fma_f32 v13, -v9, v11, v12
	s_delay_alu instid0(VALU_DEP_1) | instskip(NEXT) | instid1(VALU_DEP_1)
	v_fmac_f32_e32 v11, v13, v10
	v_fma_f32 v9, -v9, v11, v12
	s_delay_alu instid0(VALU_DEP_1) | instskip(SKIP_2) | instid1(VALU_DEP_3)
	v_div_fmas_f32 v9, v9, v10, v11
	v_mul_f32_e32 v10, v8, v5
	v_mul_f32_e64 v8, v8, -v4
	v_div_fixup_f32 v6, v9, v6, 1.0
	s_delay_alu instid0(VALU_DEP_3) | instskip(NEXT) | instid1(VALU_DEP_3)
	v_fmac_f32_e32 v10, v4, v7
	v_fmac_f32_e32 v8, v5, v7
	s_delay_alu instid0(VALU_DEP_2) | instskip(NEXT) | instid1(VALU_DEP_2)
	v_mul_f32_e32 v4, v6, v10
	v_mul_f32_e32 v5, v6, v8
.LBB47_15:                              ;   in Loop: Header=BB47_7 Depth=2
	s_or_b32 exec_lo, exec_lo, s1
	s_delay_alu instid0(VALU_DEP_2)
	v_cmp_gt_f32_e32 vcc_lo, 0, v4
                                        ; implicit-def: $vgpr8
	s_mov_b32 s1, exec_lo
	v_cndmask_b32_e64 v6, v4, -v4, vcc_lo
	v_cmp_gt_f32_e32 vcc_lo, 0, v5
	s_waitcnt vmcnt(0)
	v_cndmask_b32_e64 v7, v5, -v5, vcc_lo
	s_delay_alu instid0(VALU_DEP_1)
	v_cmpx_ngt_f32_e32 v6, v7
	s_xor_b32 s31, exec_lo, s1
	s_cbranch_execnz .LBB47_18
; %bb.16:                               ;   in Loop: Header=BB47_7 Depth=2
	s_and_not1_saveexec_b32 s31, s31
	s_cbranch_execnz .LBB47_21
.LBB47_17:                              ;   in Loop: Header=BB47_7 Depth=2
	s_or_b32 exec_lo, exec_lo, s31
	v_cmp_class_f32_e64 s31, v8, 0x1f8
	s_delay_alu instid0(VALU_DEP_1)
	s_and_saveexec_b32 s1, s31
	s_cbranch_execz .LBB47_6
	s_branch .LBB47_22
.LBB47_18:                              ;   in Loop: Header=BB47_7 Depth=2
	v_mov_b32_e32 v8, 0
	s_mov_b32 s33, exec_lo
	v_cmpx_neq_f32_e32 0, v5
	s_cbranch_execz .LBB47_20
; %bb.19:                               ;   in Loop: Header=BB47_7 Depth=2
	v_div_scale_f32 v8, null, v7, v7, v6
	v_div_scale_f32 v11, vcc_lo, v6, v7, v6
	s_delay_alu instid0(VALU_DEP_2) | instskip(SKIP_2) | instid1(VALU_DEP_1)
	v_rcp_f32_e32 v9, v8
	s_waitcnt_depctr 0xfff
	v_fma_f32 v10, -v8, v9, 1.0
	v_fmac_f32_e32 v9, v10, v9
	s_delay_alu instid0(VALU_DEP_1) | instskip(NEXT) | instid1(VALU_DEP_1)
	v_mul_f32_e32 v10, v11, v9
	v_fma_f32 v12, -v8, v10, v11
	s_delay_alu instid0(VALU_DEP_1) | instskip(NEXT) | instid1(VALU_DEP_1)
	v_fmac_f32_e32 v10, v12, v9
	v_fma_f32 v8, -v8, v10, v11
	s_delay_alu instid0(VALU_DEP_1) | instskip(NEXT) | instid1(VALU_DEP_1)
	v_div_fmas_f32 v8, v8, v9, v10
	v_div_fixup_f32 v6, v8, v7, v6
	s_delay_alu instid0(VALU_DEP_1) | instskip(NEXT) | instid1(VALU_DEP_1)
	v_fma_f32 v6, v6, v6, 1.0
	v_mul_f32_e32 v8, 0x4f800000, v6
	v_cmp_gt_f32_e32 vcc_lo, 0xf800000, v6
	s_delay_alu instid0(VALU_DEP_2) | instskip(NEXT) | instid1(VALU_DEP_1)
	v_cndmask_b32_e32 v6, v6, v8, vcc_lo
	v_sqrt_f32_e32 v8, v6
	s_waitcnt_depctr 0xfff
	v_add_nc_u32_e32 v9, -1, v8
	v_add_nc_u32_e32 v10, 1, v8
	s_delay_alu instid0(VALU_DEP_2) | instskip(NEXT) | instid1(VALU_DEP_2)
	v_fma_f32 v11, -v9, v8, v6
	v_fma_f32 v12, -v10, v8, v6
	s_delay_alu instid0(VALU_DEP_2) | instskip(NEXT) | instid1(VALU_DEP_1)
	v_cmp_ge_f32_e64 s1, 0, v11
	v_cndmask_b32_e64 v8, v8, v9, s1
	s_delay_alu instid0(VALU_DEP_3) | instskip(NEXT) | instid1(VALU_DEP_1)
	v_cmp_lt_f32_e64 s1, 0, v12
	v_cndmask_b32_e64 v8, v8, v10, s1
	s_delay_alu instid0(VALU_DEP_1) | instskip(NEXT) | instid1(VALU_DEP_1)
	v_mul_f32_e32 v9, 0x37800000, v8
	v_cndmask_b32_e32 v8, v8, v9, vcc_lo
	v_cmp_class_f32_e64 vcc_lo, v6, 0x260
	s_delay_alu instid0(VALU_DEP_2) | instskip(NEXT) | instid1(VALU_DEP_1)
	v_cndmask_b32_e32 v6, v8, v6, vcc_lo
	v_mul_f32_e32 v8, v7, v6
.LBB47_20:                              ;   in Loop: Header=BB47_7 Depth=2
	s_or_b32 exec_lo, exec_lo, s33
                                        ; implicit-def: $vgpr6
                                        ; implicit-def: $vgpr7
	s_and_not1_saveexec_b32 s31, s31
	s_cbranch_execz .LBB47_17
.LBB47_21:                              ;   in Loop: Header=BB47_7 Depth=2
	v_div_scale_f32 v8, null, v6, v6, v7
	v_div_scale_f32 v11, vcc_lo, v7, v6, v7
	s_delay_alu instid0(VALU_DEP_2) | instskip(SKIP_2) | instid1(VALU_DEP_1)
	v_rcp_f32_e32 v9, v8
	s_waitcnt_depctr 0xfff
	v_fma_f32 v10, -v8, v9, 1.0
	v_fmac_f32_e32 v9, v10, v9
	s_delay_alu instid0(VALU_DEP_1) | instskip(NEXT) | instid1(VALU_DEP_1)
	v_mul_f32_e32 v10, v11, v9
	v_fma_f32 v12, -v8, v10, v11
	s_delay_alu instid0(VALU_DEP_1) | instskip(NEXT) | instid1(VALU_DEP_1)
	v_fmac_f32_e32 v10, v12, v9
	v_fma_f32 v8, -v8, v10, v11
	s_delay_alu instid0(VALU_DEP_1) | instskip(NEXT) | instid1(VALU_DEP_1)
	v_div_fmas_f32 v8, v8, v9, v10
	v_div_fixup_f32 v7, v8, v6, v7
	s_delay_alu instid0(VALU_DEP_1) | instskip(NEXT) | instid1(VALU_DEP_1)
	v_fma_f32 v7, v7, v7, 1.0
	v_mul_f32_e32 v8, 0x4f800000, v7
	v_cmp_gt_f32_e32 vcc_lo, 0xf800000, v7
	s_delay_alu instid0(VALU_DEP_2) | instskip(NEXT) | instid1(VALU_DEP_1)
	v_cndmask_b32_e32 v7, v7, v8, vcc_lo
	v_sqrt_f32_e32 v8, v7
	s_waitcnt_depctr 0xfff
	v_add_nc_u32_e32 v9, -1, v8
	v_add_nc_u32_e32 v10, 1, v8
	s_delay_alu instid0(VALU_DEP_2) | instskip(NEXT) | instid1(VALU_DEP_2)
	v_fma_f32 v11, -v9, v8, v7
	v_fma_f32 v12, -v10, v8, v7
	s_delay_alu instid0(VALU_DEP_2) | instskip(NEXT) | instid1(VALU_DEP_1)
	v_cmp_ge_f32_e64 s1, 0, v11
	v_cndmask_b32_e64 v8, v8, v9, s1
	s_delay_alu instid0(VALU_DEP_3) | instskip(NEXT) | instid1(VALU_DEP_1)
	v_cmp_lt_f32_e64 s1, 0, v12
	v_cndmask_b32_e64 v8, v8, v10, s1
	s_delay_alu instid0(VALU_DEP_1) | instskip(NEXT) | instid1(VALU_DEP_1)
	v_mul_f32_e32 v9, 0x37800000, v8
	v_cndmask_b32_e32 v8, v8, v9, vcc_lo
	v_cmp_class_f32_e64 vcc_lo, v7, 0x260
	s_delay_alu instid0(VALU_DEP_2) | instskip(NEXT) | instid1(VALU_DEP_1)
	v_cndmask_b32_e32 v7, v8, v7, vcc_lo
	v_mul_f32_e32 v8, v6, v7
	s_or_b32 exec_lo, exec_lo, s31
	s_delay_alu instid0(VALU_DEP_1) | instskip(NEXT) | instid1(VALU_DEP_1)
	v_cmp_class_f32_e64 s31, v8, 0x1f8
	s_and_saveexec_b32 s1, s31
	s_cbranch_execz .LBB47_6
.LBB47_22:                              ;   in Loop: Header=BB47_7 Depth=2
	v_add_co_u32 v2, vcc_lo, s10, v2
	v_add_co_ci_u32_e32 v3, vcc_lo, s11, v3, vcc_lo
	global_store_b64 v[2:3], v[4:5], off
	s_branch .LBB47_6
.LBB47_23:
	s_nop 0
	s_sendmsg sendmsg(MSG_DEALLOC_VGPRS)
	s_endpgm
	.section	.rodata,"a",@progbits
	.p2align	6, 0x0
	.amdhsa_kernel _ZN9rocsparseL16kernel_calculateILi1024ELi4ELb0E21rocsparse_complex_numIfEiiEEvT4_T3_PKS4_S6_PKS3_PKT2_21rocsparse_index_base_S6_S6_S8_S6_S6_S8_S6_PS9_PNS_15floating_traitsIS9_E6data_tEPKSG_
		.amdhsa_group_segment_fixed_size 0
		.amdhsa_private_segment_fixed_size 0
		.amdhsa_kernarg_size 128
		.amdhsa_user_sgpr_count 15
		.amdhsa_user_sgpr_dispatch_ptr 0
		.amdhsa_user_sgpr_queue_ptr 0
		.amdhsa_user_sgpr_kernarg_segment_ptr 1
		.amdhsa_user_sgpr_dispatch_id 0
		.amdhsa_user_sgpr_private_segment_size 0
		.amdhsa_wavefront_size32 1
		.amdhsa_uses_dynamic_stack 0
		.amdhsa_enable_private_segment 0
		.amdhsa_system_sgpr_workgroup_id_x 1
		.amdhsa_system_sgpr_workgroup_id_y 0
		.amdhsa_system_sgpr_workgroup_id_z 0
		.amdhsa_system_sgpr_workgroup_info 0
		.amdhsa_system_vgpr_workitem_id 0
		.amdhsa_next_free_vgpr 27
		.amdhsa_next_free_sgpr 34
		.amdhsa_reserve_vcc 1
		.amdhsa_float_round_mode_32 0
		.amdhsa_float_round_mode_16_64 0
		.amdhsa_float_denorm_mode_32 3
		.amdhsa_float_denorm_mode_16_64 3
		.amdhsa_dx10_clamp 1
		.amdhsa_ieee_mode 1
		.amdhsa_fp16_overflow 0
		.amdhsa_workgroup_processor_mode 1
		.amdhsa_memory_ordered 1
		.amdhsa_forward_progress 0
		.amdhsa_shared_vgpr_count 0
		.amdhsa_exception_fp_ieee_invalid_op 0
		.amdhsa_exception_fp_denorm_src 0
		.amdhsa_exception_fp_ieee_div_zero 0
		.amdhsa_exception_fp_ieee_overflow 0
		.amdhsa_exception_fp_ieee_underflow 0
		.amdhsa_exception_fp_ieee_inexact 0
		.amdhsa_exception_int_div_zero 0
	.end_amdhsa_kernel
	.section	.text._ZN9rocsparseL16kernel_calculateILi1024ELi4ELb0E21rocsparse_complex_numIfEiiEEvT4_T3_PKS4_S6_PKS3_PKT2_21rocsparse_index_base_S6_S6_S8_S6_S6_S8_S6_PS9_PNS_15floating_traitsIS9_E6data_tEPKSG_,"axG",@progbits,_ZN9rocsparseL16kernel_calculateILi1024ELi4ELb0E21rocsparse_complex_numIfEiiEEvT4_T3_PKS4_S6_PKS3_PKT2_21rocsparse_index_base_S6_S6_S8_S6_S6_S8_S6_PS9_PNS_15floating_traitsIS9_E6data_tEPKSG_,comdat
.Lfunc_end47:
	.size	_ZN9rocsparseL16kernel_calculateILi1024ELi4ELb0E21rocsparse_complex_numIfEiiEEvT4_T3_PKS4_S6_PKS3_PKT2_21rocsparse_index_base_S6_S6_S8_S6_S6_S8_S6_PS9_PNS_15floating_traitsIS9_E6data_tEPKSG_, .Lfunc_end47-_ZN9rocsparseL16kernel_calculateILi1024ELi4ELb0E21rocsparse_complex_numIfEiiEEvT4_T3_PKS4_S6_PKS3_PKT2_21rocsparse_index_base_S6_S6_S8_S6_S6_S8_S6_PS9_PNS_15floating_traitsIS9_E6data_tEPKSG_
                                        ; -- End function
	.section	.AMDGPU.csdata,"",@progbits
; Kernel info:
; codeLenInByte = 1760
; NumSgprs: 36
; NumVgprs: 27
; ScratchSize: 0
; MemoryBound: 0
; FloatMode: 240
; IeeeMode: 1
; LDSByteSize: 0 bytes/workgroup (compile time only)
; SGPRBlocks: 4
; VGPRBlocks: 3
; NumSGPRsForWavesPerEU: 36
; NumVGPRsForWavesPerEU: 27
; Occupancy: 16
; WaveLimiterHint : 1
; COMPUTE_PGM_RSRC2:SCRATCH_EN: 0
; COMPUTE_PGM_RSRC2:USER_SGPR: 15
; COMPUTE_PGM_RSRC2:TRAP_HANDLER: 0
; COMPUTE_PGM_RSRC2:TGID_X_EN: 1
; COMPUTE_PGM_RSRC2:TGID_Y_EN: 0
; COMPUTE_PGM_RSRC2:TGID_Z_EN: 0
; COMPUTE_PGM_RSRC2:TIDIG_COMP_CNT: 0
	.section	.text._ZN9rocsparseL16kernel_calculateILi1024ELi8ELb0E21rocsparse_complex_numIfEiiEEvT4_T3_PKS4_S6_PKS3_PKT2_21rocsparse_index_base_S6_S6_S8_S6_S6_S8_S6_PS9_PNS_15floating_traitsIS9_E6data_tEPKSG_,"axG",@progbits,_ZN9rocsparseL16kernel_calculateILi1024ELi8ELb0E21rocsparse_complex_numIfEiiEEvT4_T3_PKS4_S6_PKS3_PKT2_21rocsparse_index_base_S6_S6_S8_S6_S6_S8_S6_PS9_PNS_15floating_traitsIS9_E6data_tEPKSG_,comdat
	.globl	_ZN9rocsparseL16kernel_calculateILi1024ELi8ELb0E21rocsparse_complex_numIfEiiEEvT4_T3_PKS4_S6_PKS3_PKT2_21rocsparse_index_base_S6_S6_S8_S6_S6_S8_S6_PS9_PNS_15floating_traitsIS9_E6data_tEPKSG_ ; -- Begin function _ZN9rocsparseL16kernel_calculateILi1024ELi8ELb0E21rocsparse_complex_numIfEiiEEvT4_T3_PKS4_S6_PKS3_PKT2_21rocsparse_index_base_S6_S6_S8_S6_S6_S8_S6_PS9_PNS_15floating_traitsIS9_E6data_tEPKSG_
	.p2align	8
	.type	_ZN9rocsparseL16kernel_calculateILi1024ELi8ELb0E21rocsparse_complex_numIfEiiEEvT4_T3_PKS4_S6_PKS3_PKT2_21rocsparse_index_base_S6_S6_S8_S6_S6_S8_S6_PS9_PNS_15floating_traitsIS9_E6data_tEPKSG_,@function
_ZN9rocsparseL16kernel_calculateILi1024ELi8ELb0E21rocsparse_complex_numIfEiiEEvT4_T3_PKS4_S6_PKS3_PKT2_21rocsparse_index_base_S6_S6_S8_S6_S6_S8_S6_PS9_PNS_15floating_traitsIS9_E6data_tEPKSG_: ; @_ZN9rocsparseL16kernel_calculateILi1024ELi8ELb0E21rocsparse_complex_numIfEiiEEvT4_T3_PKS4_S6_PKS3_PKT2_21rocsparse_index_base_S6_S6_S8_S6_S6_S8_S6_PS9_PNS_15floating_traitsIS9_E6data_tEPKSG_
; %bb.0:
	s_load_b32 s2, s[0:1], 0x0
	v_lshrrev_b32_e32 v1, 3, v0
	s_mov_b32 s3, exec_lo
	s_delay_alu instid0(VALU_DEP_1) | instskip(SKIP_1) | instid1(VALU_DEP_1)
	v_lshl_or_b32 v15, s15, 10, v1
	s_waitcnt lgkmcnt(0)
	v_cmpx_gt_i32_e64 s2, v15
	s_cbranch_execz .LBB48_23
; %bb.1:
	s_clause 0x3
	s_load_b32 s3, s[0:1], 0x28
	s_load_b256 s[4:11], s[0:1], 0x50
	s_load_b256 s[12:19], s[0:1], 0x30
	;; [unrolled: 1-line block ×3, first 2 shown]
	v_and_b32_e32 v0, 7, v0
	s_mov_b32 s28, 0
	s_waitcnt lgkmcnt(0)
	s_delay_alu instid0(VALU_DEP_1)
	v_subrev_nc_u32_e32 v16, s3, v0
	s_branch .LBB48_3
.LBB48_2:                               ;   in Loop: Header=BB48_3 Depth=1
	s_or_b32 exec_lo, exec_lo, s29
	s_add_i32 s28, s28, 1
	s_delay_alu instid0(SALU_CYCLE_1)
	s_cmp_lg_u32 s28, 8
	s_cbranch_scc0 .LBB48_23
.LBB48_3:                               ; =>This Loop Header: Depth=1
                                        ;     Child Loop BB48_7 Depth 2
                                        ;       Child Loop BB48_10 Depth 3
	v_lshl_add_u32 v0, s28, 7, v15
	s_mov_b32 s29, exec_lo
	s_delay_alu instid0(VALU_DEP_1)
	v_cmpx_gt_i32_e64 s2, v0
	s_cbranch_execz .LBB48_2
; %bb.4:                                ;   in Loop: Header=BB48_3 Depth=1
	v_ashrrev_i32_e32 v1, 31, v0
	s_delay_alu instid0(VALU_DEP_1) | instskip(NEXT) | instid1(VALU_DEP_1)
	v_lshlrev_b64 v[2:3], 2, v[0:1]
	v_add_co_u32 v4, vcc_lo, s22, v2
	s_delay_alu instid0(VALU_DEP_2)
	v_add_co_ci_u32_e32 v5, vcc_lo, s23, v3, vcc_lo
	v_add_co_u32 v6, vcc_lo, s20, v2
	v_add_co_ci_u32_e32 v7, vcc_lo, s21, v3, vcc_lo
	global_load_b32 v1, v[4:5], off
	global_load_b32 v4, v[6:7], off
	s_waitcnt vmcnt(1)
	v_subrev_nc_u32_e32 v17, s3, v1
	s_waitcnt vmcnt(0)
	v_add_nc_u32_e32 v1, v16, v4
	s_delay_alu instid0(VALU_DEP_1)
	v_cmp_lt_i32_e32 vcc_lo, v1, v17
	s_and_b32 exec_lo, exec_lo, vcc_lo
	s_cbranch_execz .LBB48_2
; %bb.5:                                ;   in Loop: Header=BB48_3 Depth=1
	v_add_co_u32 v4, vcc_lo, s14, v2
	v_add_co_ci_u32_e32 v5, vcc_lo, s15, v3, vcc_lo
	v_add_co_u32 v2, vcc_lo, s12, v2
	v_add_co_ci_u32_e32 v3, vcc_lo, s13, v3, vcc_lo
	s_mov_b32 s30, 0
	global_load_b32 v4, v[4:5], off
	global_load_b32 v2, v[2:3], off
	s_waitcnt vmcnt(1)
	v_subrev_nc_u32_e32 v18, s3, v4
	s_waitcnt vmcnt(0)
	v_cmp_lt_i32_e64 s0, v2, v4
	v_subrev_nc_u32_e32 v19, s3, v2
	s_branch .LBB48_7
.LBB48_6:                               ;   in Loop: Header=BB48_7 Depth=2
	s_or_b32 exec_lo, exec_lo, s1
	v_add_nc_u32_e32 v1, 8, v1
	s_delay_alu instid0(VALU_DEP_1) | instskip(SKIP_1) | instid1(SALU_CYCLE_1)
	v_cmp_ge_i32_e32 vcc_lo, v1, v17
	s_or_b32 s30, vcc_lo, s30
	s_and_not1_b32 exec_lo, exec_lo, s30
	s_cbranch_execz .LBB48_2
.LBB48_7:                               ;   Parent Loop BB48_3 Depth=1
                                        ; =>  This Loop Header: Depth=2
                                        ;       Child Loop BB48_10 Depth 3
	v_ashrrev_i32_e32 v2, 31, v1
	v_dual_mov_b32 v20, 0 :: v_dual_mov_b32 v21, 0
	s_delay_alu instid0(VALU_DEP_2) | instskip(NEXT) | instid1(VALU_DEP_1)
	v_lshlrev_b64 v[3:4], 2, v[1:2]
	v_add_co_u32 v3, vcc_lo, s24, v3
	s_delay_alu instid0(VALU_DEP_2) | instskip(SKIP_4) | instid1(VALU_DEP_2)
	v_add_co_ci_u32_e32 v4, vcc_lo, s25, v4, vcc_lo
	global_load_b32 v3, v[3:4], off
	s_waitcnt vmcnt(0)
	v_subrev_nc_u32_e32 v6, s3, v3
	v_lshlrev_b64 v[2:3], 3, v[1:2]
	v_ashrrev_i32_e32 v7, 31, v6
	s_delay_alu instid0(VALU_DEP_1) | instskip(NEXT) | instid1(VALU_DEP_1)
	v_lshlrev_b64 v[4:5], 2, v[6:7]
	v_add_co_u32 v7, vcc_lo, s14, v4
	s_delay_alu instid0(VALU_DEP_2)
	v_add_co_ci_u32_e32 v8, vcc_lo, s15, v5, vcc_lo
	v_add_co_u32 v9, vcc_lo, s4, v4
	v_add_co_ci_u32_e32 v10, vcc_lo, s5, v5, vcc_lo
	global_load_b32 v7, v[7:8], off
	v_add_co_u32 v4, vcc_lo, s18, v4
	v_add_co_ci_u32_e32 v5, vcc_lo, s19, v5, vcc_lo
	v_add_co_u32 v11, vcc_lo, s26, v2
	v_add_co_ci_u32_e32 v12, vcc_lo, s27, v3, vcc_lo
	global_load_b32 v9, v[9:10], off
	global_load_b32 v10, v[4:5], off
	s_waitcnt vmcnt(2)
	v_subrev_nc_u32_e32 v7, s3, v7
	s_delay_alu instid0(VALU_DEP_1) | instskip(NEXT) | instid1(VALU_DEP_1)
	v_ashrrev_i32_e32 v8, 31, v7
	v_lshlrev_b64 v[7:8], 3, v[7:8]
	s_delay_alu instid0(VALU_DEP_1) | instskip(NEXT) | instid1(VALU_DEP_2)
	v_add_co_u32 v7, vcc_lo, s10, v7
	v_add_co_ci_u32_e32 v8, vcc_lo, s11, v8, vcc_lo
	s_waitcnt vmcnt(0)
	v_cmp_lt_i32_e32 vcc_lo, v10, v9
	global_load_b64 v[4:5], v[11:12], off
	global_load_b64 v[7:8], v[7:8], off
	s_and_b32 s1, s0, vcc_lo
	s_delay_alu instid0(SALU_CYCLE_1)
	s_and_saveexec_b32 s31, s1
	s_cbranch_execz .LBB48_13
; %bb.8:                                ;   in Loop: Header=BB48_7 Depth=2
	v_subrev_nc_u32_e32 v22, s3, v9
	v_subrev_nc_u32_e32 v9, s3, v10
	v_dual_mov_b32 v20, 0 :: v_dual_mov_b32 v11, v19
	v_mov_b32_e32 v21, 0
	s_mov_b32 s33, 0
	s_branch .LBB48_10
.LBB48_9:                               ;   in Loop: Header=BB48_10 Depth=3
	s_or_b32 exec_lo, exec_lo, s1
	v_cmp_le_i32_e32 vcc_lo, v10, v23
	v_add_co_ci_u32_e32 v11, vcc_lo, 0, v11, vcc_lo
	v_cmp_ge_i32_e32 vcc_lo, v10, v23
	v_add_co_ci_u32_e32 v9, vcc_lo, 0, v9, vcc_lo
	s_delay_alu instid0(VALU_DEP_3) | instskip(NEXT) | instid1(VALU_DEP_2)
	v_cmp_ge_i32_e32 vcc_lo, v11, v18
	v_cmp_ge_i32_e64 s1, v9, v22
	s_delay_alu instid0(VALU_DEP_1) | instskip(NEXT) | instid1(SALU_CYCLE_1)
	s_or_b32 s1, vcc_lo, s1
	s_and_b32 s1, exec_lo, s1
	s_delay_alu instid0(SALU_CYCLE_1) | instskip(NEXT) | instid1(SALU_CYCLE_1)
	s_or_b32 s33, s1, s33
	s_and_not1_b32 exec_lo, exec_lo, s33
	s_cbranch_execz .LBB48_12
.LBB48_10:                              ;   Parent Loop BB48_3 Depth=1
                                        ;     Parent Loop BB48_7 Depth=2
                                        ; =>    This Inner Loop Header: Depth=3
	s_delay_alu instid0(VALU_DEP_2) | instskip(SKIP_2) | instid1(VALU_DEP_2)
	v_ashrrev_i32_e32 v12, 31, v11
	v_ashrrev_i32_e32 v10, 31, v9
	s_mov_b32 s1, exec_lo
	v_lshlrev_b64 v[23:24], 2, v[11:12]
	s_delay_alu instid0(VALU_DEP_2) | instskip(NEXT) | instid1(VALU_DEP_2)
	v_lshlrev_b64 v[13:14], 2, v[9:10]
	v_add_co_u32 v23, vcc_lo, s16, v23
	s_delay_alu instid0(VALU_DEP_3) | instskip(NEXT) | instid1(VALU_DEP_3)
	v_add_co_ci_u32_e32 v24, vcc_lo, s17, v24, vcc_lo
	v_add_co_u32 v25, vcc_lo, s6, v13
	s_delay_alu instid0(VALU_DEP_4)
	v_add_co_ci_u32_e32 v26, vcc_lo, s7, v14, vcc_lo
	global_load_b32 v10, v[23:24], off
	global_load_b32 v23, v[25:26], off
	s_waitcnt vmcnt(0)
	v_cmpx_eq_u32_e64 v10, v23
	s_cbranch_execz .LBB48_9
; %bb.11:                               ;   in Loop: Header=BB48_10 Depth=3
	v_add_co_u32 v13, vcc_lo, s8, v13
	v_add_co_ci_u32_e32 v14, vcc_lo, s9, v14, vcc_lo
	v_lshlrev_b64 v[24:25], 3, v[11:12]
	global_load_b32 v13, v[13:14], off
	v_add_co_u32 v24, vcc_lo, s10, v24
	v_add_co_ci_u32_e32 v25, vcc_lo, s11, v25, vcc_lo
	s_waitcnt vmcnt(0)
	v_ashrrev_i32_e32 v14, 31, v13
	s_delay_alu instid0(VALU_DEP_1) | instskip(NEXT) | instid1(VALU_DEP_1)
	v_lshlrev_b64 v[12:13], 3, v[13:14]
	v_add_co_u32 v12, vcc_lo, s10, v12
	s_delay_alu instid0(VALU_DEP_2)
	v_add_co_ci_u32_e32 v13, vcc_lo, s11, v13, vcc_lo
	s_clause 0x1
	global_load_b64 v[24:25], v[24:25], off
	global_load_b64 v[12:13], v[12:13], off
	s_waitcnt vmcnt(0)
	v_fmac_f32_e32 v20, v24, v12
	v_fmac_f32_e32 v21, v25, v12
	s_delay_alu instid0(VALU_DEP_2) | instskip(NEXT) | instid1(VALU_DEP_2)
	v_fma_f32 v20, -v25, v13, v20
	v_fmac_f32_e32 v21, v24, v13
	s_branch .LBB48_9
.LBB48_12:                              ;   in Loop: Header=BB48_7 Depth=2
	s_or_b32 exec_lo, exec_lo, s33
.LBB48_13:                              ;   in Loop: Header=BB48_7 Depth=2
	s_delay_alu instid0(SALU_CYCLE_1)
	s_or_b32 exec_lo, exec_lo, s31
	s_waitcnt vmcnt(1)
	v_dual_sub_f32 v4, v4, v20 :: v_dual_sub_f32 v5, v5, v21
	s_mov_b32 s1, exec_lo
	v_cmpx_gt_i32_e64 v0, v6
	s_cbranch_execz .LBB48_15
; %bb.14:                               ;   in Loop: Header=BB48_7 Depth=2
	s_waitcnt vmcnt(0)
	v_mul_f32_e32 v6, v8, v8
	s_delay_alu instid0(VALU_DEP_1) | instskip(NEXT) | instid1(VALU_DEP_1)
	v_fmac_f32_e32 v6, v7, v7
	v_div_scale_f32 v9, null, v6, v6, 1.0
	v_div_scale_f32 v12, vcc_lo, 1.0, v6, 1.0
	s_delay_alu instid0(VALU_DEP_2) | instskip(SKIP_2) | instid1(VALU_DEP_1)
	v_rcp_f32_e32 v10, v9
	s_waitcnt_depctr 0xfff
	v_fma_f32 v11, -v9, v10, 1.0
	v_fmac_f32_e32 v10, v11, v10
	s_delay_alu instid0(VALU_DEP_1) | instskip(NEXT) | instid1(VALU_DEP_1)
	v_mul_f32_e32 v11, v12, v10
	v_fma_f32 v13, -v9, v11, v12
	s_delay_alu instid0(VALU_DEP_1) | instskip(NEXT) | instid1(VALU_DEP_1)
	v_fmac_f32_e32 v11, v13, v10
	v_fma_f32 v9, -v9, v11, v12
	s_delay_alu instid0(VALU_DEP_1) | instskip(SKIP_2) | instid1(VALU_DEP_3)
	v_div_fmas_f32 v9, v9, v10, v11
	v_mul_f32_e32 v10, v8, v5
	v_mul_f32_e64 v8, v8, -v4
	v_div_fixup_f32 v6, v9, v6, 1.0
	s_delay_alu instid0(VALU_DEP_3) | instskip(NEXT) | instid1(VALU_DEP_3)
	v_fmac_f32_e32 v10, v4, v7
	v_fmac_f32_e32 v8, v5, v7
	s_delay_alu instid0(VALU_DEP_2) | instskip(NEXT) | instid1(VALU_DEP_2)
	v_mul_f32_e32 v4, v6, v10
	v_mul_f32_e32 v5, v6, v8
.LBB48_15:                              ;   in Loop: Header=BB48_7 Depth=2
	s_or_b32 exec_lo, exec_lo, s1
	s_delay_alu instid0(VALU_DEP_2)
	v_cmp_gt_f32_e32 vcc_lo, 0, v4
                                        ; implicit-def: $vgpr8
	s_mov_b32 s1, exec_lo
	v_cndmask_b32_e64 v6, v4, -v4, vcc_lo
	v_cmp_gt_f32_e32 vcc_lo, 0, v5
	s_waitcnt vmcnt(0)
	v_cndmask_b32_e64 v7, v5, -v5, vcc_lo
	s_delay_alu instid0(VALU_DEP_1)
	v_cmpx_ngt_f32_e32 v6, v7
	s_xor_b32 s31, exec_lo, s1
	s_cbranch_execnz .LBB48_18
; %bb.16:                               ;   in Loop: Header=BB48_7 Depth=2
	s_and_not1_saveexec_b32 s31, s31
	s_cbranch_execnz .LBB48_21
.LBB48_17:                              ;   in Loop: Header=BB48_7 Depth=2
	s_or_b32 exec_lo, exec_lo, s31
	v_cmp_class_f32_e64 s31, v8, 0x1f8
	s_delay_alu instid0(VALU_DEP_1)
	s_and_saveexec_b32 s1, s31
	s_cbranch_execz .LBB48_6
	s_branch .LBB48_22
.LBB48_18:                              ;   in Loop: Header=BB48_7 Depth=2
	v_mov_b32_e32 v8, 0
	s_mov_b32 s33, exec_lo
	v_cmpx_neq_f32_e32 0, v5
	s_cbranch_execz .LBB48_20
; %bb.19:                               ;   in Loop: Header=BB48_7 Depth=2
	v_div_scale_f32 v8, null, v7, v7, v6
	v_div_scale_f32 v11, vcc_lo, v6, v7, v6
	s_delay_alu instid0(VALU_DEP_2) | instskip(SKIP_2) | instid1(VALU_DEP_1)
	v_rcp_f32_e32 v9, v8
	s_waitcnt_depctr 0xfff
	v_fma_f32 v10, -v8, v9, 1.0
	v_fmac_f32_e32 v9, v10, v9
	s_delay_alu instid0(VALU_DEP_1) | instskip(NEXT) | instid1(VALU_DEP_1)
	v_mul_f32_e32 v10, v11, v9
	v_fma_f32 v12, -v8, v10, v11
	s_delay_alu instid0(VALU_DEP_1) | instskip(NEXT) | instid1(VALU_DEP_1)
	v_fmac_f32_e32 v10, v12, v9
	v_fma_f32 v8, -v8, v10, v11
	s_delay_alu instid0(VALU_DEP_1) | instskip(NEXT) | instid1(VALU_DEP_1)
	v_div_fmas_f32 v8, v8, v9, v10
	v_div_fixup_f32 v6, v8, v7, v6
	s_delay_alu instid0(VALU_DEP_1) | instskip(NEXT) | instid1(VALU_DEP_1)
	v_fma_f32 v6, v6, v6, 1.0
	v_mul_f32_e32 v8, 0x4f800000, v6
	v_cmp_gt_f32_e32 vcc_lo, 0xf800000, v6
	s_delay_alu instid0(VALU_DEP_2) | instskip(NEXT) | instid1(VALU_DEP_1)
	v_cndmask_b32_e32 v6, v6, v8, vcc_lo
	v_sqrt_f32_e32 v8, v6
	s_waitcnt_depctr 0xfff
	v_add_nc_u32_e32 v9, -1, v8
	v_add_nc_u32_e32 v10, 1, v8
	s_delay_alu instid0(VALU_DEP_2) | instskip(NEXT) | instid1(VALU_DEP_2)
	v_fma_f32 v11, -v9, v8, v6
	v_fma_f32 v12, -v10, v8, v6
	s_delay_alu instid0(VALU_DEP_2) | instskip(NEXT) | instid1(VALU_DEP_1)
	v_cmp_ge_f32_e64 s1, 0, v11
	v_cndmask_b32_e64 v8, v8, v9, s1
	s_delay_alu instid0(VALU_DEP_3) | instskip(NEXT) | instid1(VALU_DEP_1)
	v_cmp_lt_f32_e64 s1, 0, v12
	v_cndmask_b32_e64 v8, v8, v10, s1
	s_delay_alu instid0(VALU_DEP_1) | instskip(NEXT) | instid1(VALU_DEP_1)
	v_mul_f32_e32 v9, 0x37800000, v8
	v_cndmask_b32_e32 v8, v8, v9, vcc_lo
	v_cmp_class_f32_e64 vcc_lo, v6, 0x260
	s_delay_alu instid0(VALU_DEP_2) | instskip(NEXT) | instid1(VALU_DEP_1)
	v_cndmask_b32_e32 v6, v8, v6, vcc_lo
	v_mul_f32_e32 v8, v7, v6
.LBB48_20:                              ;   in Loop: Header=BB48_7 Depth=2
	s_or_b32 exec_lo, exec_lo, s33
                                        ; implicit-def: $vgpr6
                                        ; implicit-def: $vgpr7
	s_and_not1_saveexec_b32 s31, s31
	s_cbranch_execz .LBB48_17
.LBB48_21:                              ;   in Loop: Header=BB48_7 Depth=2
	v_div_scale_f32 v8, null, v6, v6, v7
	v_div_scale_f32 v11, vcc_lo, v7, v6, v7
	s_delay_alu instid0(VALU_DEP_2) | instskip(SKIP_2) | instid1(VALU_DEP_1)
	v_rcp_f32_e32 v9, v8
	s_waitcnt_depctr 0xfff
	v_fma_f32 v10, -v8, v9, 1.0
	v_fmac_f32_e32 v9, v10, v9
	s_delay_alu instid0(VALU_DEP_1) | instskip(NEXT) | instid1(VALU_DEP_1)
	v_mul_f32_e32 v10, v11, v9
	v_fma_f32 v12, -v8, v10, v11
	s_delay_alu instid0(VALU_DEP_1) | instskip(NEXT) | instid1(VALU_DEP_1)
	v_fmac_f32_e32 v10, v12, v9
	v_fma_f32 v8, -v8, v10, v11
	s_delay_alu instid0(VALU_DEP_1) | instskip(NEXT) | instid1(VALU_DEP_1)
	v_div_fmas_f32 v8, v8, v9, v10
	v_div_fixup_f32 v7, v8, v6, v7
	s_delay_alu instid0(VALU_DEP_1) | instskip(NEXT) | instid1(VALU_DEP_1)
	v_fma_f32 v7, v7, v7, 1.0
	v_mul_f32_e32 v8, 0x4f800000, v7
	v_cmp_gt_f32_e32 vcc_lo, 0xf800000, v7
	s_delay_alu instid0(VALU_DEP_2) | instskip(NEXT) | instid1(VALU_DEP_1)
	v_cndmask_b32_e32 v7, v7, v8, vcc_lo
	v_sqrt_f32_e32 v8, v7
	s_waitcnt_depctr 0xfff
	v_add_nc_u32_e32 v9, -1, v8
	v_add_nc_u32_e32 v10, 1, v8
	s_delay_alu instid0(VALU_DEP_2) | instskip(NEXT) | instid1(VALU_DEP_2)
	v_fma_f32 v11, -v9, v8, v7
	v_fma_f32 v12, -v10, v8, v7
	s_delay_alu instid0(VALU_DEP_2) | instskip(NEXT) | instid1(VALU_DEP_1)
	v_cmp_ge_f32_e64 s1, 0, v11
	v_cndmask_b32_e64 v8, v8, v9, s1
	s_delay_alu instid0(VALU_DEP_3) | instskip(NEXT) | instid1(VALU_DEP_1)
	v_cmp_lt_f32_e64 s1, 0, v12
	v_cndmask_b32_e64 v8, v8, v10, s1
	s_delay_alu instid0(VALU_DEP_1) | instskip(NEXT) | instid1(VALU_DEP_1)
	v_mul_f32_e32 v9, 0x37800000, v8
	v_cndmask_b32_e32 v8, v8, v9, vcc_lo
	v_cmp_class_f32_e64 vcc_lo, v7, 0x260
	s_delay_alu instid0(VALU_DEP_2) | instskip(NEXT) | instid1(VALU_DEP_1)
	v_cndmask_b32_e32 v7, v8, v7, vcc_lo
	v_mul_f32_e32 v8, v6, v7
	s_or_b32 exec_lo, exec_lo, s31
	s_delay_alu instid0(VALU_DEP_1) | instskip(NEXT) | instid1(VALU_DEP_1)
	v_cmp_class_f32_e64 s31, v8, 0x1f8
	s_and_saveexec_b32 s1, s31
	s_cbranch_execz .LBB48_6
.LBB48_22:                              ;   in Loop: Header=BB48_7 Depth=2
	v_add_co_u32 v2, vcc_lo, s10, v2
	v_add_co_ci_u32_e32 v3, vcc_lo, s11, v3, vcc_lo
	global_store_b64 v[2:3], v[4:5], off
	s_branch .LBB48_6
.LBB48_23:
	s_nop 0
	s_sendmsg sendmsg(MSG_DEALLOC_VGPRS)
	s_endpgm
	.section	.rodata,"a",@progbits
	.p2align	6, 0x0
	.amdhsa_kernel _ZN9rocsparseL16kernel_calculateILi1024ELi8ELb0E21rocsparse_complex_numIfEiiEEvT4_T3_PKS4_S6_PKS3_PKT2_21rocsparse_index_base_S6_S6_S8_S6_S6_S8_S6_PS9_PNS_15floating_traitsIS9_E6data_tEPKSG_
		.amdhsa_group_segment_fixed_size 0
		.amdhsa_private_segment_fixed_size 0
		.amdhsa_kernarg_size 128
		.amdhsa_user_sgpr_count 15
		.amdhsa_user_sgpr_dispatch_ptr 0
		.amdhsa_user_sgpr_queue_ptr 0
		.amdhsa_user_sgpr_kernarg_segment_ptr 1
		.amdhsa_user_sgpr_dispatch_id 0
		.amdhsa_user_sgpr_private_segment_size 0
		.amdhsa_wavefront_size32 1
		.amdhsa_uses_dynamic_stack 0
		.amdhsa_enable_private_segment 0
		.amdhsa_system_sgpr_workgroup_id_x 1
		.amdhsa_system_sgpr_workgroup_id_y 0
		.amdhsa_system_sgpr_workgroup_id_z 0
		.amdhsa_system_sgpr_workgroup_info 0
		.amdhsa_system_vgpr_workitem_id 0
		.amdhsa_next_free_vgpr 27
		.amdhsa_next_free_sgpr 34
		.amdhsa_reserve_vcc 1
		.amdhsa_float_round_mode_32 0
		.amdhsa_float_round_mode_16_64 0
		.amdhsa_float_denorm_mode_32 3
		.amdhsa_float_denorm_mode_16_64 3
		.amdhsa_dx10_clamp 1
		.amdhsa_ieee_mode 1
		.amdhsa_fp16_overflow 0
		.amdhsa_workgroup_processor_mode 1
		.amdhsa_memory_ordered 1
		.amdhsa_forward_progress 0
		.amdhsa_shared_vgpr_count 0
		.amdhsa_exception_fp_ieee_invalid_op 0
		.amdhsa_exception_fp_denorm_src 0
		.amdhsa_exception_fp_ieee_div_zero 0
		.amdhsa_exception_fp_ieee_overflow 0
		.amdhsa_exception_fp_ieee_underflow 0
		.amdhsa_exception_fp_ieee_inexact 0
		.amdhsa_exception_int_div_zero 0
	.end_amdhsa_kernel
	.section	.text._ZN9rocsparseL16kernel_calculateILi1024ELi8ELb0E21rocsparse_complex_numIfEiiEEvT4_T3_PKS4_S6_PKS3_PKT2_21rocsparse_index_base_S6_S6_S8_S6_S6_S8_S6_PS9_PNS_15floating_traitsIS9_E6data_tEPKSG_,"axG",@progbits,_ZN9rocsparseL16kernel_calculateILi1024ELi8ELb0E21rocsparse_complex_numIfEiiEEvT4_T3_PKS4_S6_PKS3_PKT2_21rocsparse_index_base_S6_S6_S8_S6_S6_S8_S6_PS9_PNS_15floating_traitsIS9_E6data_tEPKSG_,comdat
.Lfunc_end48:
	.size	_ZN9rocsparseL16kernel_calculateILi1024ELi8ELb0E21rocsparse_complex_numIfEiiEEvT4_T3_PKS4_S6_PKS3_PKT2_21rocsparse_index_base_S6_S6_S8_S6_S6_S8_S6_PS9_PNS_15floating_traitsIS9_E6data_tEPKSG_, .Lfunc_end48-_ZN9rocsparseL16kernel_calculateILi1024ELi8ELb0E21rocsparse_complex_numIfEiiEEvT4_T3_PKS4_S6_PKS3_PKT2_21rocsparse_index_base_S6_S6_S8_S6_S6_S8_S6_PS9_PNS_15floating_traitsIS9_E6data_tEPKSG_
                                        ; -- End function
	.section	.AMDGPU.csdata,"",@progbits
; Kernel info:
; codeLenInByte = 1760
; NumSgprs: 36
; NumVgprs: 27
; ScratchSize: 0
; MemoryBound: 0
; FloatMode: 240
; IeeeMode: 1
; LDSByteSize: 0 bytes/workgroup (compile time only)
; SGPRBlocks: 4
; VGPRBlocks: 3
; NumSGPRsForWavesPerEU: 36
; NumVGPRsForWavesPerEU: 27
; Occupancy: 16
; WaveLimiterHint : 1
; COMPUTE_PGM_RSRC2:SCRATCH_EN: 0
; COMPUTE_PGM_RSRC2:USER_SGPR: 15
; COMPUTE_PGM_RSRC2:TRAP_HANDLER: 0
; COMPUTE_PGM_RSRC2:TGID_X_EN: 1
; COMPUTE_PGM_RSRC2:TGID_Y_EN: 0
; COMPUTE_PGM_RSRC2:TGID_Z_EN: 0
; COMPUTE_PGM_RSRC2:TIDIG_COMP_CNT: 0
	.section	.text._ZN9rocsparseL16kernel_calculateILi1024ELi16ELb0E21rocsparse_complex_numIfEiiEEvT4_T3_PKS4_S6_PKS3_PKT2_21rocsparse_index_base_S6_S6_S8_S6_S6_S8_S6_PS9_PNS_15floating_traitsIS9_E6data_tEPKSG_,"axG",@progbits,_ZN9rocsparseL16kernel_calculateILi1024ELi16ELb0E21rocsparse_complex_numIfEiiEEvT4_T3_PKS4_S6_PKS3_PKT2_21rocsparse_index_base_S6_S6_S8_S6_S6_S8_S6_PS9_PNS_15floating_traitsIS9_E6data_tEPKSG_,comdat
	.globl	_ZN9rocsparseL16kernel_calculateILi1024ELi16ELb0E21rocsparse_complex_numIfEiiEEvT4_T3_PKS4_S6_PKS3_PKT2_21rocsparse_index_base_S6_S6_S8_S6_S6_S8_S6_PS9_PNS_15floating_traitsIS9_E6data_tEPKSG_ ; -- Begin function _ZN9rocsparseL16kernel_calculateILi1024ELi16ELb0E21rocsparse_complex_numIfEiiEEvT4_T3_PKS4_S6_PKS3_PKT2_21rocsparse_index_base_S6_S6_S8_S6_S6_S8_S6_PS9_PNS_15floating_traitsIS9_E6data_tEPKSG_
	.p2align	8
	.type	_ZN9rocsparseL16kernel_calculateILi1024ELi16ELb0E21rocsparse_complex_numIfEiiEEvT4_T3_PKS4_S6_PKS3_PKT2_21rocsparse_index_base_S6_S6_S8_S6_S6_S8_S6_PS9_PNS_15floating_traitsIS9_E6data_tEPKSG_,@function
_ZN9rocsparseL16kernel_calculateILi1024ELi16ELb0E21rocsparse_complex_numIfEiiEEvT4_T3_PKS4_S6_PKS3_PKT2_21rocsparse_index_base_S6_S6_S8_S6_S6_S8_S6_PS9_PNS_15floating_traitsIS9_E6data_tEPKSG_: ; @_ZN9rocsparseL16kernel_calculateILi1024ELi16ELb0E21rocsparse_complex_numIfEiiEEvT4_T3_PKS4_S6_PKS3_PKT2_21rocsparse_index_base_S6_S6_S8_S6_S6_S8_S6_PS9_PNS_15floating_traitsIS9_E6data_tEPKSG_
; %bb.0:
	s_load_b32 s2, s[0:1], 0x0
	v_lshrrev_b32_e32 v1, 4, v0
	s_mov_b32 s3, exec_lo
	s_delay_alu instid0(VALU_DEP_1) | instskip(SKIP_1) | instid1(VALU_DEP_1)
	v_lshl_or_b32 v15, s15, 10, v1
	s_waitcnt lgkmcnt(0)
	v_cmpx_gt_i32_e64 s2, v15
	s_cbranch_execz .LBB49_23
; %bb.1:
	s_clause 0x3
	s_load_b32 s3, s[0:1], 0x28
	s_load_b256 s[4:11], s[0:1], 0x50
	s_load_b256 s[12:19], s[0:1], 0x30
	;; [unrolled: 1-line block ×3, first 2 shown]
	v_and_b32_e32 v0, 15, v0
	s_mov_b32 s28, 0
	s_waitcnt lgkmcnt(0)
	s_delay_alu instid0(VALU_DEP_1)
	v_subrev_nc_u32_e32 v16, s3, v0
	s_branch .LBB49_3
.LBB49_2:                               ;   in Loop: Header=BB49_3 Depth=1
	s_or_b32 exec_lo, exec_lo, s29
	s_add_i32 s28, s28, 1
	s_delay_alu instid0(SALU_CYCLE_1)
	s_cmp_lg_u32 s28, 16
	s_cbranch_scc0 .LBB49_23
.LBB49_3:                               ; =>This Loop Header: Depth=1
                                        ;     Child Loop BB49_7 Depth 2
                                        ;       Child Loop BB49_10 Depth 3
	v_lshl_add_u32 v0, s28, 6, v15
	s_mov_b32 s29, exec_lo
	s_delay_alu instid0(VALU_DEP_1)
	v_cmpx_gt_i32_e64 s2, v0
	s_cbranch_execz .LBB49_2
; %bb.4:                                ;   in Loop: Header=BB49_3 Depth=1
	v_ashrrev_i32_e32 v1, 31, v0
	s_delay_alu instid0(VALU_DEP_1) | instskip(NEXT) | instid1(VALU_DEP_1)
	v_lshlrev_b64 v[2:3], 2, v[0:1]
	v_add_co_u32 v4, vcc_lo, s22, v2
	s_delay_alu instid0(VALU_DEP_2)
	v_add_co_ci_u32_e32 v5, vcc_lo, s23, v3, vcc_lo
	v_add_co_u32 v6, vcc_lo, s20, v2
	v_add_co_ci_u32_e32 v7, vcc_lo, s21, v3, vcc_lo
	global_load_b32 v1, v[4:5], off
	global_load_b32 v4, v[6:7], off
	s_waitcnt vmcnt(1)
	v_subrev_nc_u32_e32 v17, s3, v1
	s_waitcnt vmcnt(0)
	v_add_nc_u32_e32 v1, v16, v4
	s_delay_alu instid0(VALU_DEP_1)
	v_cmp_lt_i32_e32 vcc_lo, v1, v17
	s_and_b32 exec_lo, exec_lo, vcc_lo
	s_cbranch_execz .LBB49_2
; %bb.5:                                ;   in Loop: Header=BB49_3 Depth=1
	v_add_co_u32 v4, vcc_lo, s14, v2
	v_add_co_ci_u32_e32 v5, vcc_lo, s15, v3, vcc_lo
	v_add_co_u32 v2, vcc_lo, s12, v2
	v_add_co_ci_u32_e32 v3, vcc_lo, s13, v3, vcc_lo
	s_mov_b32 s30, 0
	global_load_b32 v4, v[4:5], off
	global_load_b32 v2, v[2:3], off
	s_waitcnt vmcnt(1)
	v_subrev_nc_u32_e32 v18, s3, v4
	s_waitcnt vmcnt(0)
	v_cmp_lt_i32_e64 s0, v2, v4
	v_subrev_nc_u32_e32 v19, s3, v2
	s_branch .LBB49_7
.LBB49_6:                               ;   in Loop: Header=BB49_7 Depth=2
	s_or_b32 exec_lo, exec_lo, s1
	v_add_nc_u32_e32 v1, 16, v1
	s_delay_alu instid0(VALU_DEP_1) | instskip(SKIP_1) | instid1(SALU_CYCLE_1)
	v_cmp_ge_i32_e32 vcc_lo, v1, v17
	s_or_b32 s30, vcc_lo, s30
	s_and_not1_b32 exec_lo, exec_lo, s30
	s_cbranch_execz .LBB49_2
.LBB49_7:                               ;   Parent Loop BB49_3 Depth=1
                                        ; =>  This Loop Header: Depth=2
                                        ;       Child Loop BB49_10 Depth 3
	v_ashrrev_i32_e32 v2, 31, v1
	v_dual_mov_b32 v20, 0 :: v_dual_mov_b32 v21, 0
	s_delay_alu instid0(VALU_DEP_2) | instskip(NEXT) | instid1(VALU_DEP_1)
	v_lshlrev_b64 v[3:4], 2, v[1:2]
	v_add_co_u32 v3, vcc_lo, s24, v3
	s_delay_alu instid0(VALU_DEP_2) | instskip(SKIP_4) | instid1(VALU_DEP_2)
	v_add_co_ci_u32_e32 v4, vcc_lo, s25, v4, vcc_lo
	global_load_b32 v3, v[3:4], off
	s_waitcnt vmcnt(0)
	v_subrev_nc_u32_e32 v6, s3, v3
	v_lshlrev_b64 v[2:3], 3, v[1:2]
	v_ashrrev_i32_e32 v7, 31, v6
	s_delay_alu instid0(VALU_DEP_1) | instskip(NEXT) | instid1(VALU_DEP_1)
	v_lshlrev_b64 v[4:5], 2, v[6:7]
	v_add_co_u32 v7, vcc_lo, s14, v4
	s_delay_alu instid0(VALU_DEP_2)
	v_add_co_ci_u32_e32 v8, vcc_lo, s15, v5, vcc_lo
	v_add_co_u32 v9, vcc_lo, s4, v4
	v_add_co_ci_u32_e32 v10, vcc_lo, s5, v5, vcc_lo
	global_load_b32 v7, v[7:8], off
	v_add_co_u32 v4, vcc_lo, s18, v4
	v_add_co_ci_u32_e32 v5, vcc_lo, s19, v5, vcc_lo
	v_add_co_u32 v11, vcc_lo, s26, v2
	v_add_co_ci_u32_e32 v12, vcc_lo, s27, v3, vcc_lo
	global_load_b32 v9, v[9:10], off
	global_load_b32 v10, v[4:5], off
	s_waitcnt vmcnt(2)
	v_subrev_nc_u32_e32 v7, s3, v7
	s_delay_alu instid0(VALU_DEP_1) | instskip(NEXT) | instid1(VALU_DEP_1)
	v_ashrrev_i32_e32 v8, 31, v7
	v_lshlrev_b64 v[7:8], 3, v[7:8]
	s_delay_alu instid0(VALU_DEP_1) | instskip(NEXT) | instid1(VALU_DEP_2)
	v_add_co_u32 v7, vcc_lo, s10, v7
	v_add_co_ci_u32_e32 v8, vcc_lo, s11, v8, vcc_lo
	s_waitcnt vmcnt(0)
	v_cmp_lt_i32_e32 vcc_lo, v10, v9
	global_load_b64 v[4:5], v[11:12], off
	global_load_b64 v[7:8], v[7:8], off
	s_and_b32 s1, s0, vcc_lo
	s_delay_alu instid0(SALU_CYCLE_1)
	s_and_saveexec_b32 s31, s1
	s_cbranch_execz .LBB49_13
; %bb.8:                                ;   in Loop: Header=BB49_7 Depth=2
	v_subrev_nc_u32_e32 v22, s3, v9
	v_subrev_nc_u32_e32 v9, s3, v10
	v_dual_mov_b32 v20, 0 :: v_dual_mov_b32 v11, v19
	v_mov_b32_e32 v21, 0
	s_mov_b32 s33, 0
	s_branch .LBB49_10
.LBB49_9:                               ;   in Loop: Header=BB49_10 Depth=3
	s_or_b32 exec_lo, exec_lo, s1
	v_cmp_le_i32_e32 vcc_lo, v10, v23
	v_add_co_ci_u32_e32 v11, vcc_lo, 0, v11, vcc_lo
	v_cmp_ge_i32_e32 vcc_lo, v10, v23
	v_add_co_ci_u32_e32 v9, vcc_lo, 0, v9, vcc_lo
	s_delay_alu instid0(VALU_DEP_3) | instskip(NEXT) | instid1(VALU_DEP_2)
	v_cmp_ge_i32_e32 vcc_lo, v11, v18
	v_cmp_ge_i32_e64 s1, v9, v22
	s_delay_alu instid0(VALU_DEP_1) | instskip(NEXT) | instid1(SALU_CYCLE_1)
	s_or_b32 s1, vcc_lo, s1
	s_and_b32 s1, exec_lo, s1
	s_delay_alu instid0(SALU_CYCLE_1) | instskip(NEXT) | instid1(SALU_CYCLE_1)
	s_or_b32 s33, s1, s33
	s_and_not1_b32 exec_lo, exec_lo, s33
	s_cbranch_execz .LBB49_12
.LBB49_10:                              ;   Parent Loop BB49_3 Depth=1
                                        ;     Parent Loop BB49_7 Depth=2
                                        ; =>    This Inner Loop Header: Depth=3
	s_delay_alu instid0(VALU_DEP_2) | instskip(SKIP_2) | instid1(VALU_DEP_2)
	v_ashrrev_i32_e32 v12, 31, v11
	v_ashrrev_i32_e32 v10, 31, v9
	s_mov_b32 s1, exec_lo
	v_lshlrev_b64 v[23:24], 2, v[11:12]
	s_delay_alu instid0(VALU_DEP_2) | instskip(NEXT) | instid1(VALU_DEP_2)
	v_lshlrev_b64 v[13:14], 2, v[9:10]
	v_add_co_u32 v23, vcc_lo, s16, v23
	s_delay_alu instid0(VALU_DEP_3) | instskip(NEXT) | instid1(VALU_DEP_3)
	v_add_co_ci_u32_e32 v24, vcc_lo, s17, v24, vcc_lo
	v_add_co_u32 v25, vcc_lo, s6, v13
	s_delay_alu instid0(VALU_DEP_4)
	v_add_co_ci_u32_e32 v26, vcc_lo, s7, v14, vcc_lo
	global_load_b32 v10, v[23:24], off
	global_load_b32 v23, v[25:26], off
	s_waitcnt vmcnt(0)
	v_cmpx_eq_u32_e64 v10, v23
	s_cbranch_execz .LBB49_9
; %bb.11:                               ;   in Loop: Header=BB49_10 Depth=3
	v_add_co_u32 v13, vcc_lo, s8, v13
	v_add_co_ci_u32_e32 v14, vcc_lo, s9, v14, vcc_lo
	v_lshlrev_b64 v[24:25], 3, v[11:12]
	global_load_b32 v13, v[13:14], off
	v_add_co_u32 v24, vcc_lo, s10, v24
	v_add_co_ci_u32_e32 v25, vcc_lo, s11, v25, vcc_lo
	s_waitcnt vmcnt(0)
	v_ashrrev_i32_e32 v14, 31, v13
	s_delay_alu instid0(VALU_DEP_1) | instskip(NEXT) | instid1(VALU_DEP_1)
	v_lshlrev_b64 v[12:13], 3, v[13:14]
	v_add_co_u32 v12, vcc_lo, s10, v12
	s_delay_alu instid0(VALU_DEP_2)
	v_add_co_ci_u32_e32 v13, vcc_lo, s11, v13, vcc_lo
	s_clause 0x1
	global_load_b64 v[24:25], v[24:25], off
	global_load_b64 v[12:13], v[12:13], off
	s_waitcnt vmcnt(0)
	v_fmac_f32_e32 v20, v24, v12
	v_fmac_f32_e32 v21, v25, v12
	s_delay_alu instid0(VALU_DEP_2) | instskip(NEXT) | instid1(VALU_DEP_2)
	v_fma_f32 v20, -v25, v13, v20
	v_fmac_f32_e32 v21, v24, v13
	s_branch .LBB49_9
.LBB49_12:                              ;   in Loop: Header=BB49_7 Depth=2
	s_or_b32 exec_lo, exec_lo, s33
.LBB49_13:                              ;   in Loop: Header=BB49_7 Depth=2
	s_delay_alu instid0(SALU_CYCLE_1)
	s_or_b32 exec_lo, exec_lo, s31
	s_waitcnt vmcnt(1)
	v_dual_sub_f32 v4, v4, v20 :: v_dual_sub_f32 v5, v5, v21
	s_mov_b32 s1, exec_lo
	v_cmpx_gt_i32_e64 v0, v6
	s_cbranch_execz .LBB49_15
; %bb.14:                               ;   in Loop: Header=BB49_7 Depth=2
	s_waitcnt vmcnt(0)
	v_mul_f32_e32 v6, v8, v8
	s_delay_alu instid0(VALU_DEP_1) | instskip(NEXT) | instid1(VALU_DEP_1)
	v_fmac_f32_e32 v6, v7, v7
	v_div_scale_f32 v9, null, v6, v6, 1.0
	v_div_scale_f32 v12, vcc_lo, 1.0, v6, 1.0
	s_delay_alu instid0(VALU_DEP_2) | instskip(SKIP_2) | instid1(VALU_DEP_1)
	v_rcp_f32_e32 v10, v9
	s_waitcnt_depctr 0xfff
	v_fma_f32 v11, -v9, v10, 1.0
	v_fmac_f32_e32 v10, v11, v10
	s_delay_alu instid0(VALU_DEP_1) | instskip(NEXT) | instid1(VALU_DEP_1)
	v_mul_f32_e32 v11, v12, v10
	v_fma_f32 v13, -v9, v11, v12
	s_delay_alu instid0(VALU_DEP_1) | instskip(NEXT) | instid1(VALU_DEP_1)
	v_fmac_f32_e32 v11, v13, v10
	v_fma_f32 v9, -v9, v11, v12
	s_delay_alu instid0(VALU_DEP_1) | instskip(SKIP_2) | instid1(VALU_DEP_3)
	v_div_fmas_f32 v9, v9, v10, v11
	v_mul_f32_e32 v10, v8, v5
	v_mul_f32_e64 v8, v8, -v4
	v_div_fixup_f32 v6, v9, v6, 1.0
	s_delay_alu instid0(VALU_DEP_3) | instskip(NEXT) | instid1(VALU_DEP_3)
	v_fmac_f32_e32 v10, v4, v7
	v_fmac_f32_e32 v8, v5, v7
	s_delay_alu instid0(VALU_DEP_2) | instskip(NEXT) | instid1(VALU_DEP_2)
	v_mul_f32_e32 v4, v6, v10
	v_mul_f32_e32 v5, v6, v8
.LBB49_15:                              ;   in Loop: Header=BB49_7 Depth=2
	s_or_b32 exec_lo, exec_lo, s1
	s_delay_alu instid0(VALU_DEP_2)
	v_cmp_gt_f32_e32 vcc_lo, 0, v4
                                        ; implicit-def: $vgpr8
	s_mov_b32 s1, exec_lo
	v_cndmask_b32_e64 v6, v4, -v4, vcc_lo
	v_cmp_gt_f32_e32 vcc_lo, 0, v5
	s_waitcnt vmcnt(0)
	v_cndmask_b32_e64 v7, v5, -v5, vcc_lo
	s_delay_alu instid0(VALU_DEP_1)
	v_cmpx_ngt_f32_e32 v6, v7
	s_xor_b32 s31, exec_lo, s1
	s_cbranch_execnz .LBB49_18
; %bb.16:                               ;   in Loop: Header=BB49_7 Depth=2
	s_and_not1_saveexec_b32 s31, s31
	s_cbranch_execnz .LBB49_21
.LBB49_17:                              ;   in Loop: Header=BB49_7 Depth=2
	s_or_b32 exec_lo, exec_lo, s31
	v_cmp_class_f32_e64 s31, v8, 0x1f8
	s_delay_alu instid0(VALU_DEP_1)
	s_and_saveexec_b32 s1, s31
	s_cbranch_execz .LBB49_6
	s_branch .LBB49_22
.LBB49_18:                              ;   in Loop: Header=BB49_7 Depth=2
	v_mov_b32_e32 v8, 0
	s_mov_b32 s33, exec_lo
	v_cmpx_neq_f32_e32 0, v5
	s_cbranch_execz .LBB49_20
; %bb.19:                               ;   in Loop: Header=BB49_7 Depth=2
	v_div_scale_f32 v8, null, v7, v7, v6
	v_div_scale_f32 v11, vcc_lo, v6, v7, v6
	s_delay_alu instid0(VALU_DEP_2) | instskip(SKIP_2) | instid1(VALU_DEP_1)
	v_rcp_f32_e32 v9, v8
	s_waitcnt_depctr 0xfff
	v_fma_f32 v10, -v8, v9, 1.0
	v_fmac_f32_e32 v9, v10, v9
	s_delay_alu instid0(VALU_DEP_1) | instskip(NEXT) | instid1(VALU_DEP_1)
	v_mul_f32_e32 v10, v11, v9
	v_fma_f32 v12, -v8, v10, v11
	s_delay_alu instid0(VALU_DEP_1) | instskip(NEXT) | instid1(VALU_DEP_1)
	v_fmac_f32_e32 v10, v12, v9
	v_fma_f32 v8, -v8, v10, v11
	s_delay_alu instid0(VALU_DEP_1) | instskip(NEXT) | instid1(VALU_DEP_1)
	v_div_fmas_f32 v8, v8, v9, v10
	v_div_fixup_f32 v6, v8, v7, v6
	s_delay_alu instid0(VALU_DEP_1) | instskip(NEXT) | instid1(VALU_DEP_1)
	v_fma_f32 v6, v6, v6, 1.0
	v_mul_f32_e32 v8, 0x4f800000, v6
	v_cmp_gt_f32_e32 vcc_lo, 0xf800000, v6
	s_delay_alu instid0(VALU_DEP_2) | instskip(NEXT) | instid1(VALU_DEP_1)
	v_cndmask_b32_e32 v6, v6, v8, vcc_lo
	v_sqrt_f32_e32 v8, v6
	s_waitcnt_depctr 0xfff
	v_add_nc_u32_e32 v9, -1, v8
	v_add_nc_u32_e32 v10, 1, v8
	s_delay_alu instid0(VALU_DEP_2) | instskip(NEXT) | instid1(VALU_DEP_2)
	v_fma_f32 v11, -v9, v8, v6
	v_fma_f32 v12, -v10, v8, v6
	s_delay_alu instid0(VALU_DEP_2) | instskip(NEXT) | instid1(VALU_DEP_1)
	v_cmp_ge_f32_e64 s1, 0, v11
	v_cndmask_b32_e64 v8, v8, v9, s1
	s_delay_alu instid0(VALU_DEP_3) | instskip(NEXT) | instid1(VALU_DEP_1)
	v_cmp_lt_f32_e64 s1, 0, v12
	v_cndmask_b32_e64 v8, v8, v10, s1
	s_delay_alu instid0(VALU_DEP_1) | instskip(NEXT) | instid1(VALU_DEP_1)
	v_mul_f32_e32 v9, 0x37800000, v8
	v_cndmask_b32_e32 v8, v8, v9, vcc_lo
	v_cmp_class_f32_e64 vcc_lo, v6, 0x260
	s_delay_alu instid0(VALU_DEP_2) | instskip(NEXT) | instid1(VALU_DEP_1)
	v_cndmask_b32_e32 v6, v8, v6, vcc_lo
	v_mul_f32_e32 v8, v7, v6
.LBB49_20:                              ;   in Loop: Header=BB49_7 Depth=2
	s_or_b32 exec_lo, exec_lo, s33
                                        ; implicit-def: $vgpr6
                                        ; implicit-def: $vgpr7
	s_and_not1_saveexec_b32 s31, s31
	s_cbranch_execz .LBB49_17
.LBB49_21:                              ;   in Loop: Header=BB49_7 Depth=2
	v_div_scale_f32 v8, null, v6, v6, v7
	v_div_scale_f32 v11, vcc_lo, v7, v6, v7
	s_delay_alu instid0(VALU_DEP_2) | instskip(SKIP_2) | instid1(VALU_DEP_1)
	v_rcp_f32_e32 v9, v8
	s_waitcnt_depctr 0xfff
	v_fma_f32 v10, -v8, v9, 1.0
	v_fmac_f32_e32 v9, v10, v9
	s_delay_alu instid0(VALU_DEP_1) | instskip(NEXT) | instid1(VALU_DEP_1)
	v_mul_f32_e32 v10, v11, v9
	v_fma_f32 v12, -v8, v10, v11
	s_delay_alu instid0(VALU_DEP_1) | instskip(NEXT) | instid1(VALU_DEP_1)
	v_fmac_f32_e32 v10, v12, v9
	v_fma_f32 v8, -v8, v10, v11
	s_delay_alu instid0(VALU_DEP_1) | instskip(NEXT) | instid1(VALU_DEP_1)
	v_div_fmas_f32 v8, v8, v9, v10
	v_div_fixup_f32 v7, v8, v6, v7
	s_delay_alu instid0(VALU_DEP_1) | instskip(NEXT) | instid1(VALU_DEP_1)
	v_fma_f32 v7, v7, v7, 1.0
	v_mul_f32_e32 v8, 0x4f800000, v7
	v_cmp_gt_f32_e32 vcc_lo, 0xf800000, v7
	s_delay_alu instid0(VALU_DEP_2) | instskip(NEXT) | instid1(VALU_DEP_1)
	v_cndmask_b32_e32 v7, v7, v8, vcc_lo
	v_sqrt_f32_e32 v8, v7
	s_waitcnt_depctr 0xfff
	v_add_nc_u32_e32 v9, -1, v8
	v_add_nc_u32_e32 v10, 1, v8
	s_delay_alu instid0(VALU_DEP_2) | instskip(NEXT) | instid1(VALU_DEP_2)
	v_fma_f32 v11, -v9, v8, v7
	v_fma_f32 v12, -v10, v8, v7
	s_delay_alu instid0(VALU_DEP_2) | instskip(NEXT) | instid1(VALU_DEP_1)
	v_cmp_ge_f32_e64 s1, 0, v11
	v_cndmask_b32_e64 v8, v8, v9, s1
	s_delay_alu instid0(VALU_DEP_3) | instskip(NEXT) | instid1(VALU_DEP_1)
	v_cmp_lt_f32_e64 s1, 0, v12
	v_cndmask_b32_e64 v8, v8, v10, s1
	s_delay_alu instid0(VALU_DEP_1) | instskip(NEXT) | instid1(VALU_DEP_1)
	v_mul_f32_e32 v9, 0x37800000, v8
	v_cndmask_b32_e32 v8, v8, v9, vcc_lo
	v_cmp_class_f32_e64 vcc_lo, v7, 0x260
	s_delay_alu instid0(VALU_DEP_2) | instskip(NEXT) | instid1(VALU_DEP_1)
	v_cndmask_b32_e32 v7, v8, v7, vcc_lo
	v_mul_f32_e32 v8, v6, v7
	s_or_b32 exec_lo, exec_lo, s31
	s_delay_alu instid0(VALU_DEP_1) | instskip(NEXT) | instid1(VALU_DEP_1)
	v_cmp_class_f32_e64 s31, v8, 0x1f8
	s_and_saveexec_b32 s1, s31
	s_cbranch_execz .LBB49_6
.LBB49_22:                              ;   in Loop: Header=BB49_7 Depth=2
	v_add_co_u32 v2, vcc_lo, s10, v2
	v_add_co_ci_u32_e32 v3, vcc_lo, s11, v3, vcc_lo
	global_store_b64 v[2:3], v[4:5], off
	s_branch .LBB49_6
.LBB49_23:
	s_nop 0
	s_sendmsg sendmsg(MSG_DEALLOC_VGPRS)
	s_endpgm
	.section	.rodata,"a",@progbits
	.p2align	6, 0x0
	.amdhsa_kernel _ZN9rocsparseL16kernel_calculateILi1024ELi16ELb0E21rocsparse_complex_numIfEiiEEvT4_T3_PKS4_S6_PKS3_PKT2_21rocsparse_index_base_S6_S6_S8_S6_S6_S8_S6_PS9_PNS_15floating_traitsIS9_E6data_tEPKSG_
		.amdhsa_group_segment_fixed_size 0
		.amdhsa_private_segment_fixed_size 0
		.amdhsa_kernarg_size 128
		.amdhsa_user_sgpr_count 15
		.amdhsa_user_sgpr_dispatch_ptr 0
		.amdhsa_user_sgpr_queue_ptr 0
		.amdhsa_user_sgpr_kernarg_segment_ptr 1
		.amdhsa_user_sgpr_dispatch_id 0
		.amdhsa_user_sgpr_private_segment_size 0
		.amdhsa_wavefront_size32 1
		.amdhsa_uses_dynamic_stack 0
		.amdhsa_enable_private_segment 0
		.amdhsa_system_sgpr_workgroup_id_x 1
		.amdhsa_system_sgpr_workgroup_id_y 0
		.amdhsa_system_sgpr_workgroup_id_z 0
		.amdhsa_system_sgpr_workgroup_info 0
		.amdhsa_system_vgpr_workitem_id 0
		.amdhsa_next_free_vgpr 27
		.amdhsa_next_free_sgpr 34
		.amdhsa_reserve_vcc 1
		.amdhsa_float_round_mode_32 0
		.amdhsa_float_round_mode_16_64 0
		.amdhsa_float_denorm_mode_32 3
		.amdhsa_float_denorm_mode_16_64 3
		.amdhsa_dx10_clamp 1
		.amdhsa_ieee_mode 1
		.amdhsa_fp16_overflow 0
		.amdhsa_workgroup_processor_mode 1
		.amdhsa_memory_ordered 1
		.amdhsa_forward_progress 0
		.amdhsa_shared_vgpr_count 0
		.amdhsa_exception_fp_ieee_invalid_op 0
		.amdhsa_exception_fp_denorm_src 0
		.amdhsa_exception_fp_ieee_div_zero 0
		.amdhsa_exception_fp_ieee_overflow 0
		.amdhsa_exception_fp_ieee_underflow 0
		.amdhsa_exception_fp_ieee_inexact 0
		.amdhsa_exception_int_div_zero 0
	.end_amdhsa_kernel
	.section	.text._ZN9rocsparseL16kernel_calculateILi1024ELi16ELb0E21rocsparse_complex_numIfEiiEEvT4_T3_PKS4_S6_PKS3_PKT2_21rocsparse_index_base_S6_S6_S8_S6_S6_S8_S6_PS9_PNS_15floating_traitsIS9_E6data_tEPKSG_,"axG",@progbits,_ZN9rocsparseL16kernel_calculateILi1024ELi16ELb0E21rocsparse_complex_numIfEiiEEvT4_T3_PKS4_S6_PKS3_PKT2_21rocsparse_index_base_S6_S6_S8_S6_S6_S8_S6_PS9_PNS_15floating_traitsIS9_E6data_tEPKSG_,comdat
.Lfunc_end49:
	.size	_ZN9rocsparseL16kernel_calculateILi1024ELi16ELb0E21rocsparse_complex_numIfEiiEEvT4_T3_PKS4_S6_PKS3_PKT2_21rocsparse_index_base_S6_S6_S8_S6_S6_S8_S6_PS9_PNS_15floating_traitsIS9_E6data_tEPKSG_, .Lfunc_end49-_ZN9rocsparseL16kernel_calculateILi1024ELi16ELb0E21rocsparse_complex_numIfEiiEEvT4_T3_PKS4_S6_PKS3_PKT2_21rocsparse_index_base_S6_S6_S8_S6_S6_S8_S6_PS9_PNS_15floating_traitsIS9_E6data_tEPKSG_
                                        ; -- End function
	.section	.AMDGPU.csdata,"",@progbits
; Kernel info:
; codeLenInByte = 1760
; NumSgprs: 36
; NumVgprs: 27
; ScratchSize: 0
; MemoryBound: 0
; FloatMode: 240
; IeeeMode: 1
; LDSByteSize: 0 bytes/workgroup (compile time only)
; SGPRBlocks: 4
; VGPRBlocks: 3
; NumSGPRsForWavesPerEU: 36
; NumVGPRsForWavesPerEU: 27
; Occupancy: 16
; WaveLimiterHint : 1
; COMPUTE_PGM_RSRC2:SCRATCH_EN: 0
; COMPUTE_PGM_RSRC2:USER_SGPR: 15
; COMPUTE_PGM_RSRC2:TRAP_HANDLER: 0
; COMPUTE_PGM_RSRC2:TGID_X_EN: 1
; COMPUTE_PGM_RSRC2:TGID_Y_EN: 0
; COMPUTE_PGM_RSRC2:TGID_Z_EN: 0
; COMPUTE_PGM_RSRC2:TIDIG_COMP_CNT: 0
	.section	.text._ZN9rocsparseL16kernel_calculateILi1024ELi32ELb0E21rocsparse_complex_numIfEiiEEvT4_T3_PKS4_S6_PKS3_PKT2_21rocsparse_index_base_S6_S6_S8_S6_S6_S8_S6_PS9_PNS_15floating_traitsIS9_E6data_tEPKSG_,"axG",@progbits,_ZN9rocsparseL16kernel_calculateILi1024ELi32ELb0E21rocsparse_complex_numIfEiiEEvT4_T3_PKS4_S6_PKS3_PKT2_21rocsparse_index_base_S6_S6_S8_S6_S6_S8_S6_PS9_PNS_15floating_traitsIS9_E6data_tEPKSG_,comdat
	.globl	_ZN9rocsparseL16kernel_calculateILi1024ELi32ELb0E21rocsparse_complex_numIfEiiEEvT4_T3_PKS4_S6_PKS3_PKT2_21rocsparse_index_base_S6_S6_S8_S6_S6_S8_S6_PS9_PNS_15floating_traitsIS9_E6data_tEPKSG_ ; -- Begin function _ZN9rocsparseL16kernel_calculateILi1024ELi32ELb0E21rocsparse_complex_numIfEiiEEvT4_T3_PKS4_S6_PKS3_PKT2_21rocsparse_index_base_S6_S6_S8_S6_S6_S8_S6_PS9_PNS_15floating_traitsIS9_E6data_tEPKSG_
	.p2align	8
	.type	_ZN9rocsparseL16kernel_calculateILi1024ELi32ELb0E21rocsparse_complex_numIfEiiEEvT4_T3_PKS4_S6_PKS3_PKT2_21rocsparse_index_base_S6_S6_S8_S6_S6_S8_S6_PS9_PNS_15floating_traitsIS9_E6data_tEPKSG_,@function
_ZN9rocsparseL16kernel_calculateILi1024ELi32ELb0E21rocsparse_complex_numIfEiiEEvT4_T3_PKS4_S6_PKS3_PKT2_21rocsparse_index_base_S6_S6_S8_S6_S6_S8_S6_PS9_PNS_15floating_traitsIS9_E6data_tEPKSG_: ; @_ZN9rocsparseL16kernel_calculateILi1024ELi32ELb0E21rocsparse_complex_numIfEiiEEvT4_T3_PKS4_S6_PKS3_PKT2_21rocsparse_index_base_S6_S6_S8_S6_S6_S8_S6_PS9_PNS_15floating_traitsIS9_E6data_tEPKSG_
; %bb.0:
	s_load_b32 s2, s[0:1], 0x0
	v_lshrrev_b32_e32 v1, 5, v0
	s_mov_b32 s3, exec_lo
	s_delay_alu instid0(VALU_DEP_1) | instskip(SKIP_1) | instid1(VALU_DEP_1)
	v_lshl_or_b32 v15, s15, 10, v1
	s_waitcnt lgkmcnt(0)
	v_cmpx_gt_i32_e64 s2, v15
	s_cbranch_execz .LBB50_23
; %bb.1:
	s_clause 0x3
	s_load_b32 s3, s[0:1], 0x28
	s_load_b256 s[4:11], s[0:1], 0x50
	s_load_b256 s[12:19], s[0:1], 0x30
	s_load_b256 s[20:27], s[0:1], 0x8
	v_and_b32_e32 v0, 31, v0
	s_mov_b32 s28, 0
	s_waitcnt lgkmcnt(0)
	s_delay_alu instid0(VALU_DEP_1)
	v_subrev_nc_u32_e32 v16, s3, v0
	s_branch .LBB50_3
.LBB50_2:                               ;   in Loop: Header=BB50_3 Depth=1
	s_or_b32 exec_lo, exec_lo, s29
	s_add_i32 s28, s28, 1
	s_delay_alu instid0(SALU_CYCLE_1)
	s_cmp_lg_u32 s28, 32
	s_cbranch_scc0 .LBB50_23
.LBB50_3:                               ; =>This Loop Header: Depth=1
                                        ;     Child Loop BB50_7 Depth 2
                                        ;       Child Loop BB50_10 Depth 3
	v_lshl_add_u32 v0, s28, 5, v15
	s_mov_b32 s29, exec_lo
	s_delay_alu instid0(VALU_DEP_1)
	v_cmpx_gt_i32_e64 s2, v0
	s_cbranch_execz .LBB50_2
; %bb.4:                                ;   in Loop: Header=BB50_3 Depth=1
	v_ashrrev_i32_e32 v1, 31, v0
	s_delay_alu instid0(VALU_DEP_1) | instskip(NEXT) | instid1(VALU_DEP_1)
	v_lshlrev_b64 v[2:3], 2, v[0:1]
	v_add_co_u32 v4, vcc_lo, s22, v2
	s_delay_alu instid0(VALU_DEP_2)
	v_add_co_ci_u32_e32 v5, vcc_lo, s23, v3, vcc_lo
	v_add_co_u32 v6, vcc_lo, s20, v2
	v_add_co_ci_u32_e32 v7, vcc_lo, s21, v3, vcc_lo
	global_load_b32 v1, v[4:5], off
	global_load_b32 v4, v[6:7], off
	s_waitcnt vmcnt(1)
	v_subrev_nc_u32_e32 v17, s3, v1
	s_waitcnt vmcnt(0)
	v_add_nc_u32_e32 v1, v16, v4
	s_delay_alu instid0(VALU_DEP_1)
	v_cmp_lt_i32_e32 vcc_lo, v1, v17
	s_and_b32 exec_lo, exec_lo, vcc_lo
	s_cbranch_execz .LBB50_2
; %bb.5:                                ;   in Loop: Header=BB50_3 Depth=1
	v_add_co_u32 v4, vcc_lo, s14, v2
	v_add_co_ci_u32_e32 v5, vcc_lo, s15, v3, vcc_lo
	v_add_co_u32 v2, vcc_lo, s12, v2
	v_add_co_ci_u32_e32 v3, vcc_lo, s13, v3, vcc_lo
	s_mov_b32 s30, 0
	global_load_b32 v4, v[4:5], off
	global_load_b32 v2, v[2:3], off
	s_waitcnt vmcnt(1)
	v_subrev_nc_u32_e32 v18, s3, v4
	s_waitcnt vmcnt(0)
	v_cmp_lt_i32_e64 s0, v2, v4
	v_subrev_nc_u32_e32 v19, s3, v2
	s_branch .LBB50_7
.LBB50_6:                               ;   in Loop: Header=BB50_7 Depth=2
	s_or_b32 exec_lo, exec_lo, s1
	v_add_nc_u32_e32 v1, 32, v1
	s_delay_alu instid0(VALU_DEP_1) | instskip(SKIP_1) | instid1(SALU_CYCLE_1)
	v_cmp_ge_i32_e32 vcc_lo, v1, v17
	s_or_b32 s30, vcc_lo, s30
	s_and_not1_b32 exec_lo, exec_lo, s30
	s_cbranch_execz .LBB50_2
.LBB50_7:                               ;   Parent Loop BB50_3 Depth=1
                                        ; =>  This Loop Header: Depth=2
                                        ;       Child Loop BB50_10 Depth 3
	v_ashrrev_i32_e32 v2, 31, v1
	v_dual_mov_b32 v20, 0 :: v_dual_mov_b32 v21, 0
	s_delay_alu instid0(VALU_DEP_2) | instskip(NEXT) | instid1(VALU_DEP_1)
	v_lshlrev_b64 v[3:4], 2, v[1:2]
	v_add_co_u32 v3, vcc_lo, s24, v3
	s_delay_alu instid0(VALU_DEP_2) | instskip(SKIP_4) | instid1(VALU_DEP_2)
	v_add_co_ci_u32_e32 v4, vcc_lo, s25, v4, vcc_lo
	global_load_b32 v3, v[3:4], off
	s_waitcnt vmcnt(0)
	v_subrev_nc_u32_e32 v6, s3, v3
	v_lshlrev_b64 v[2:3], 3, v[1:2]
	v_ashrrev_i32_e32 v7, 31, v6
	s_delay_alu instid0(VALU_DEP_1) | instskip(NEXT) | instid1(VALU_DEP_1)
	v_lshlrev_b64 v[4:5], 2, v[6:7]
	v_add_co_u32 v7, vcc_lo, s14, v4
	s_delay_alu instid0(VALU_DEP_2)
	v_add_co_ci_u32_e32 v8, vcc_lo, s15, v5, vcc_lo
	v_add_co_u32 v9, vcc_lo, s4, v4
	v_add_co_ci_u32_e32 v10, vcc_lo, s5, v5, vcc_lo
	global_load_b32 v7, v[7:8], off
	v_add_co_u32 v4, vcc_lo, s18, v4
	v_add_co_ci_u32_e32 v5, vcc_lo, s19, v5, vcc_lo
	v_add_co_u32 v11, vcc_lo, s26, v2
	v_add_co_ci_u32_e32 v12, vcc_lo, s27, v3, vcc_lo
	global_load_b32 v9, v[9:10], off
	global_load_b32 v10, v[4:5], off
	s_waitcnt vmcnt(2)
	v_subrev_nc_u32_e32 v7, s3, v7
	s_delay_alu instid0(VALU_DEP_1) | instskip(NEXT) | instid1(VALU_DEP_1)
	v_ashrrev_i32_e32 v8, 31, v7
	v_lshlrev_b64 v[7:8], 3, v[7:8]
	s_delay_alu instid0(VALU_DEP_1) | instskip(NEXT) | instid1(VALU_DEP_2)
	v_add_co_u32 v7, vcc_lo, s10, v7
	v_add_co_ci_u32_e32 v8, vcc_lo, s11, v8, vcc_lo
	s_waitcnt vmcnt(0)
	v_cmp_lt_i32_e32 vcc_lo, v10, v9
	global_load_b64 v[4:5], v[11:12], off
	global_load_b64 v[7:8], v[7:8], off
	s_and_b32 s1, s0, vcc_lo
	s_delay_alu instid0(SALU_CYCLE_1)
	s_and_saveexec_b32 s31, s1
	s_cbranch_execz .LBB50_13
; %bb.8:                                ;   in Loop: Header=BB50_7 Depth=2
	v_subrev_nc_u32_e32 v22, s3, v9
	v_subrev_nc_u32_e32 v9, s3, v10
	v_dual_mov_b32 v20, 0 :: v_dual_mov_b32 v11, v19
	v_mov_b32_e32 v21, 0
	s_mov_b32 s33, 0
	s_branch .LBB50_10
.LBB50_9:                               ;   in Loop: Header=BB50_10 Depth=3
	s_or_b32 exec_lo, exec_lo, s1
	v_cmp_le_i32_e32 vcc_lo, v10, v23
	v_add_co_ci_u32_e32 v11, vcc_lo, 0, v11, vcc_lo
	v_cmp_ge_i32_e32 vcc_lo, v10, v23
	v_add_co_ci_u32_e32 v9, vcc_lo, 0, v9, vcc_lo
	s_delay_alu instid0(VALU_DEP_3) | instskip(NEXT) | instid1(VALU_DEP_2)
	v_cmp_ge_i32_e32 vcc_lo, v11, v18
	v_cmp_ge_i32_e64 s1, v9, v22
	s_delay_alu instid0(VALU_DEP_1) | instskip(NEXT) | instid1(SALU_CYCLE_1)
	s_or_b32 s1, vcc_lo, s1
	s_and_b32 s1, exec_lo, s1
	s_delay_alu instid0(SALU_CYCLE_1) | instskip(NEXT) | instid1(SALU_CYCLE_1)
	s_or_b32 s33, s1, s33
	s_and_not1_b32 exec_lo, exec_lo, s33
	s_cbranch_execz .LBB50_12
.LBB50_10:                              ;   Parent Loop BB50_3 Depth=1
                                        ;     Parent Loop BB50_7 Depth=2
                                        ; =>    This Inner Loop Header: Depth=3
	s_delay_alu instid0(VALU_DEP_2) | instskip(SKIP_2) | instid1(VALU_DEP_2)
	v_ashrrev_i32_e32 v12, 31, v11
	v_ashrrev_i32_e32 v10, 31, v9
	s_mov_b32 s1, exec_lo
	v_lshlrev_b64 v[23:24], 2, v[11:12]
	s_delay_alu instid0(VALU_DEP_2) | instskip(NEXT) | instid1(VALU_DEP_2)
	v_lshlrev_b64 v[13:14], 2, v[9:10]
	v_add_co_u32 v23, vcc_lo, s16, v23
	s_delay_alu instid0(VALU_DEP_3) | instskip(NEXT) | instid1(VALU_DEP_3)
	v_add_co_ci_u32_e32 v24, vcc_lo, s17, v24, vcc_lo
	v_add_co_u32 v25, vcc_lo, s6, v13
	s_delay_alu instid0(VALU_DEP_4)
	v_add_co_ci_u32_e32 v26, vcc_lo, s7, v14, vcc_lo
	global_load_b32 v10, v[23:24], off
	global_load_b32 v23, v[25:26], off
	s_waitcnt vmcnt(0)
	v_cmpx_eq_u32_e64 v10, v23
	s_cbranch_execz .LBB50_9
; %bb.11:                               ;   in Loop: Header=BB50_10 Depth=3
	v_add_co_u32 v13, vcc_lo, s8, v13
	v_add_co_ci_u32_e32 v14, vcc_lo, s9, v14, vcc_lo
	v_lshlrev_b64 v[24:25], 3, v[11:12]
	global_load_b32 v13, v[13:14], off
	v_add_co_u32 v24, vcc_lo, s10, v24
	v_add_co_ci_u32_e32 v25, vcc_lo, s11, v25, vcc_lo
	s_waitcnt vmcnt(0)
	v_ashrrev_i32_e32 v14, 31, v13
	s_delay_alu instid0(VALU_DEP_1) | instskip(NEXT) | instid1(VALU_DEP_1)
	v_lshlrev_b64 v[12:13], 3, v[13:14]
	v_add_co_u32 v12, vcc_lo, s10, v12
	s_delay_alu instid0(VALU_DEP_2)
	v_add_co_ci_u32_e32 v13, vcc_lo, s11, v13, vcc_lo
	s_clause 0x1
	global_load_b64 v[24:25], v[24:25], off
	global_load_b64 v[12:13], v[12:13], off
	s_waitcnt vmcnt(0)
	v_fmac_f32_e32 v20, v24, v12
	v_fmac_f32_e32 v21, v25, v12
	s_delay_alu instid0(VALU_DEP_2) | instskip(NEXT) | instid1(VALU_DEP_2)
	v_fma_f32 v20, -v25, v13, v20
	v_fmac_f32_e32 v21, v24, v13
	s_branch .LBB50_9
.LBB50_12:                              ;   in Loop: Header=BB50_7 Depth=2
	s_or_b32 exec_lo, exec_lo, s33
.LBB50_13:                              ;   in Loop: Header=BB50_7 Depth=2
	s_delay_alu instid0(SALU_CYCLE_1)
	s_or_b32 exec_lo, exec_lo, s31
	s_waitcnt vmcnt(1)
	v_dual_sub_f32 v4, v4, v20 :: v_dual_sub_f32 v5, v5, v21
	s_mov_b32 s1, exec_lo
	v_cmpx_gt_i32_e64 v0, v6
	s_cbranch_execz .LBB50_15
; %bb.14:                               ;   in Loop: Header=BB50_7 Depth=2
	s_waitcnt vmcnt(0)
	v_mul_f32_e32 v6, v8, v8
	s_delay_alu instid0(VALU_DEP_1) | instskip(NEXT) | instid1(VALU_DEP_1)
	v_fmac_f32_e32 v6, v7, v7
	v_div_scale_f32 v9, null, v6, v6, 1.0
	v_div_scale_f32 v12, vcc_lo, 1.0, v6, 1.0
	s_delay_alu instid0(VALU_DEP_2) | instskip(SKIP_2) | instid1(VALU_DEP_1)
	v_rcp_f32_e32 v10, v9
	s_waitcnt_depctr 0xfff
	v_fma_f32 v11, -v9, v10, 1.0
	v_fmac_f32_e32 v10, v11, v10
	s_delay_alu instid0(VALU_DEP_1) | instskip(NEXT) | instid1(VALU_DEP_1)
	v_mul_f32_e32 v11, v12, v10
	v_fma_f32 v13, -v9, v11, v12
	s_delay_alu instid0(VALU_DEP_1) | instskip(NEXT) | instid1(VALU_DEP_1)
	v_fmac_f32_e32 v11, v13, v10
	v_fma_f32 v9, -v9, v11, v12
	s_delay_alu instid0(VALU_DEP_1) | instskip(SKIP_2) | instid1(VALU_DEP_3)
	v_div_fmas_f32 v9, v9, v10, v11
	v_mul_f32_e32 v10, v8, v5
	v_mul_f32_e64 v8, v8, -v4
	v_div_fixup_f32 v6, v9, v6, 1.0
	s_delay_alu instid0(VALU_DEP_3) | instskip(NEXT) | instid1(VALU_DEP_3)
	v_fmac_f32_e32 v10, v4, v7
	v_fmac_f32_e32 v8, v5, v7
	s_delay_alu instid0(VALU_DEP_2) | instskip(NEXT) | instid1(VALU_DEP_2)
	v_mul_f32_e32 v4, v6, v10
	v_mul_f32_e32 v5, v6, v8
.LBB50_15:                              ;   in Loop: Header=BB50_7 Depth=2
	s_or_b32 exec_lo, exec_lo, s1
	s_delay_alu instid0(VALU_DEP_2)
	v_cmp_gt_f32_e32 vcc_lo, 0, v4
                                        ; implicit-def: $vgpr8
	s_mov_b32 s1, exec_lo
	v_cndmask_b32_e64 v6, v4, -v4, vcc_lo
	v_cmp_gt_f32_e32 vcc_lo, 0, v5
	s_waitcnt vmcnt(0)
	v_cndmask_b32_e64 v7, v5, -v5, vcc_lo
	s_delay_alu instid0(VALU_DEP_1)
	v_cmpx_ngt_f32_e32 v6, v7
	s_xor_b32 s31, exec_lo, s1
	s_cbranch_execnz .LBB50_18
; %bb.16:                               ;   in Loop: Header=BB50_7 Depth=2
	s_and_not1_saveexec_b32 s31, s31
	s_cbranch_execnz .LBB50_21
.LBB50_17:                              ;   in Loop: Header=BB50_7 Depth=2
	s_or_b32 exec_lo, exec_lo, s31
	v_cmp_class_f32_e64 s31, v8, 0x1f8
	s_delay_alu instid0(VALU_DEP_1)
	s_and_saveexec_b32 s1, s31
	s_cbranch_execz .LBB50_6
	s_branch .LBB50_22
.LBB50_18:                              ;   in Loop: Header=BB50_7 Depth=2
	v_mov_b32_e32 v8, 0
	s_mov_b32 s33, exec_lo
	v_cmpx_neq_f32_e32 0, v5
	s_cbranch_execz .LBB50_20
; %bb.19:                               ;   in Loop: Header=BB50_7 Depth=2
	v_div_scale_f32 v8, null, v7, v7, v6
	v_div_scale_f32 v11, vcc_lo, v6, v7, v6
	s_delay_alu instid0(VALU_DEP_2) | instskip(SKIP_2) | instid1(VALU_DEP_1)
	v_rcp_f32_e32 v9, v8
	s_waitcnt_depctr 0xfff
	v_fma_f32 v10, -v8, v9, 1.0
	v_fmac_f32_e32 v9, v10, v9
	s_delay_alu instid0(VALU_DEP_1) | instskip(NEXT) | instid1(VALU_DEP_1)
	v_mul_f32_e32 v10, v11, v9
	v_fma_f32 v12, -v8, v10, v11
	s_delay_alu instid0(VALU_DEP_1) | instskip(NEXT) | instid1(VALU_DEP_1)
	v_fmac_f32_e32 v10, v12, v9
	v_fma_f32 v8, -v8, v10, v11
	s_delay_alu instid0(VALU_DEP_1) | instskip(NEXT) | instid1(VALU_DEP_1)
	v_div_fmas_f32 v8, v8, v9, v10
	v_div_fixup_f32 v6, v8, v7, v6
	s_delay_alu instid0(VALU_DEP_1) | instskip(NEXT) | instid1(VALU_DEP_1)
	v_fma_f32 v6, v6, v6, 1.0
	v_mul_f32_e32 v8, 0x4f800000, v6
	v_cmp_gt_f32_e32 vcc_lo, 0xf800000, v6
	s_delay_alu instid0(VALU_DEP_2) | instskip(NEXT) | instid1(VALU_DEP_1)
	v_cndmask_b32_e32 v6, v6, v8, vcc_lo
	v_sqrt_f32_e32 v8, v6
	s_waitcnt_depctr 0xfff
	v_add_nc_u32_e32 v9, -1, v8
	v_add_nc_u32_e32 v10, 1, v8
	s_delay_alu instid0(VALU_DEP_2) | instskip(NEXT) | instid1(VALU_DEP_2)
	v_fma_f32 v11, -v9, v8, v6
	v_fma_f32 v12, -v10, v8, v6
	s_delay_alu instid0(VALU_DEP_2) | instskip(NEXT) | instid1(VALU_DEP_1)
	v_cmp_ge_f32_e64 s1, 0, v11
	v_cndmask_b32_e64 v8, v8, v9, s1
	s_delay_alu instid0(VALU_DEP_3) | instskip(NEXT) | instid1(VALU_DEP_1)
	v_cmp_lt_f32_e64 s1, 0, v12
	v_cndmask_b32_e64 v8, v8, v10, s1
	s_delay_alu instid0(VALU_DEP_1) | instskip(NEXT) | instid1(VALU_DEP_1)
	v_mul_f32_e32 v9, 0x37800000, v8
	v_cndmask_b32_e32 v8, v8, v9, vcc_lo
	v_cmp_class_f32_e64 vcc_lo, v6, 0x260
	s_delay_alu instid0(VALU_DEP_2) | instskip(NEXT) | instid1(VALU_DEP_1)
	v_cndmask_b32_e32 v6, v8, v6, vcc_lo
	v_mul_f32_e32 v8, v7, v6
.LBB50_20:                              ;   in Loop: Header=BB50_7 Depth=2
	s_or_b32 exec_lo, exec_lo, s33
                                        ; implicit-def: $vgpr6
                                        ; implicit-def: $vgpr7
	s_and_not1_saveexec_b32 s31, s31
	s_cbranch_execz .LBB50_17
.LBB50_21:                              ;   in Loop: Header=BB50_7 Depth=2
	v_div_scale_f32 v8, null, v6, v6, v7
	v_div_scale_f32 v11, vcc_lo, v7, v6, v7
	s_delay_alu instid0(VALU_DEP_2) | instskip(SKIP_2) | instid1(VALU_DEP_1)
	v_rcp_f32_e32 v9, v8
	s_waitcnt_depctr 0xfff
	v_fma_f32 v10, -v8, v9, 1.0
	v_fmac_f32_e32 v9, v10, v9
	s_delay_alu instid0(VALU_DEP_1) | instskip(NEXT) | instid1(VALU_DEP_1)
	v_mul_f32_e32 v10, v11, v9
	v_fma_f32 v12, -v8, v10, v11
	s_delay_alu instid0(VALU_DEP_1) | instskip(NEXT) | instid1(VALU_DEP_1)
	v_fmac_f32_e32 v10, v12, v9
	v_fma_f32 v8, -v8, v10, v11
	s_delay_alu instid0(VALU_DEP_1) | instskip(NEXT) | instid1(VALU_DEP_1)
	v_div_fmas_f32 v8, v8, v9, v10
	v_div_fixup_f32 v7, v8, v6, v7
	s_delay_alu instid0(VALU_DEP_1) | instskip(NEXT) | instid1(VALU_DEP_1)
	v_fma_f32 v7, v7, v7, 1.0
	v_mul_f32_e32 v8, 0x4f800000, v7
	v_cmp_gt_f32_e32 vcc_lo, 0xf800000, v7
	s_delay_alu instid0(VALU_DEP_2) | instskip(NEXT) | instid1(VALU_DEP_1)
	v_cndmask_b32_e32 v7, v7, v8, vcc_lo
	v_sqrt_f32_e32 v8, v7
	s_waitcnt_depctr 0xfff
	v_add_nc_u32_e32 v9, -1, v8
	v_add_nc_u32_e32 v10, 1, v8
	s_delay_alu instid0(VALU_DEP_2) | instskip(NEXT) | instid1(VALU_DEP_2)
	v_fma_f32 v11, -v9, v8, v7
	v_fma_f32 v12, -v10, v8, v7
	s_delay_alu instid0(VALU_DEP_2) | instskip(NEXT) | instid1(VALU_DEP_1)
	v_cmp_ge_f32_e64 s1, 0, v11
	v_cndmask_b32_e64 v8, v8, v9, s1
	s_delay_alu instid0(VALU_DEP_3) | instskip(NEXT) | instid1(VALU_DEP_1)
	v_cmp_lt_f32_e64 s1, 0, v12
	v_cndmask_b32_e64 v8, v8, v10, s1
	s_delay_alu instid0(VALU_DEP_1) | instskip(NEXT) | instid1(VALU_DEP_1)
	v_mul_f32_e32 v9, 0x37800000, v8
	v_cndmask_b32_e32 v8, v8, v9, vcc_lo
	v_cmp_class_f32_e64 vcc_lo, v7, 0x260
	s_delay_alu instid0(VALU_DEP_2) | instskip(NEXT) | instid1(VALU_DEP_1)
	v_cndmask_b32_e32 v7, v8, v7, vcc_lo
	v_mul_f32_e32 v8, v6, v7
	s_or_b32 exec_lo, exec_lo, s31
	s_delay_alu instid0(VALU_DEP_1) | instskip(NEXT) | instid1(VALU_DEP_1)
	v_cmp_class_f32_e64 s31, v8, 0x1f8
	s_and_saveexec_b32 s1, s31
	s_cbranch_execz .LBB50_6
.LBB50_22:                              ;   in Loop: Header=BB50_7 Depth=2
	v_add_co_u32 v2, vcc_lo, s10, v2
	v_add_co_ci_u32_e32 v3, vcc_lo, s11, v3, vcc_lo
	global_store_b64 v[2:3], v[4:5], off
	s_branch .LBB50_6
.LBB50_23:
	s_nop 0
	s_sendmsg sendmsg(MSG_DEALLOC_VGPRS)
	s_endpgm
	.section	.rodata,"a",@progbits
	.p2align	6, 0x0
	.amdhsa_kernel _ZN9rocsparseL16kernel_calculateILi1024ELi32ELb0E21rocsparse_complex_numIfEiiEEvT4_T3_PKS4_S6_PKS3_PKT2_21rocsparse_index_base_S6_S6_S8_S6_S6_S8_S6_PS9_PNS_15floating_traitsIS9_E6data_tEPKSG_
		.amdhsa_group_segment_fixed_size 0
		.amdhsa_private_segment_fixed_size 0
		.amdhsa_kernarg_size 128
		.amdhsa_user_sgpr_count 15
		.amdhsa_user_sgpr_dispatch_ptr 0
		.amdhsa_user_sgpr_queue_ptr 0
		.amdhsa_user_sgpr_kernarg_segment_ptr 1
		.amdhsa_user_sgpr_dispatch_id 0
		.amdhsa_user_sgpr_private_segment_size 0
		.amdhsa_wavefront_size32 1
		.amdhsa_uses_dynamic_stack 0
		.amdhsa_enable_private_segment 0
		.amdhsa_system_sgpr_workgroup_id_x 1
		.amdhsa_system_sgpr_workgroup_id_y 0
		.amdhsa_system_sgpr_workgroup_id_z 0
		.amdhsa_system_sgpr_workgroup_info 0
		.amdhsa_system_vgpr_workitem_id 0
		.amdhsa_next_free_vgpr 27
		.amdhsa_next_free_sgpr 34
		.amdhsa_reserve_vcc 1
		.amdhsa_float_round_mode_32 0
		.amdhsa_float_round_mode_16_64 0
		.amdhsa_float_denorm_mode_32 3
		.amdhsa_float_denorm_mode_16_64 3
		.amdhsa_dx10_clamp 1
		.amdhsa_ieee_mode 1
		.amdhsa_fp16_overflow 0
		.amdhsa_workgroup_processor_mode 1
		.amdhsa_memory_ordered 1
		.amdhsa_forward_progress 0
		.amdhsa_shared_vgpr_count 0
		.amdhsa_exception_fp_ieee_invalid_op 0
		.amdhsa_exception_fp_denorm_src 0
		.amdhsa_exception_fp_ieee_div_zero 0
		.amdhsa_exception_fp_ieee_overflow 0
		.amdhsa_exception_fp_ieee_underflow 0
		.amdhsa_exception_fp_ieee_inexact 0
		.amdhsa_exception_int_div_zero 0
	.end_amdhsa_kernel
	.section	.text._ZN9rocsparseL16kernel_calculateILi1024ELi32ELb0E21rocsparse_complex_numIfEiiEEvT4_T3_PKS4_S6_PKS3_PKT2_21rocsparse_index_base_S6_S6_S8_S6_S6_S8_S6_PS9_PNS_15floating_traitsIS9_E6data_tEPKSG_,"axG",@progbits,_ZN9rocsparseL16kernel_calculateILi1024ELi32ELb0E21rocsparse_complex_numIfEiiEEvT4_T3_PKS4_S6_PKS3_PKT2_21rocsparse_index_base_S6_S6_S8_S6_S6_S8_S6_PS9_PNS_15floating_traitsIS9_E6data_tEPKSG_,comdat
.Lfunc_end50:
	.size	_ZN9rocsparseL16kernel_calculateILi1024ELi32ELb0E21rocsparse_complex_numIfEiiEEvT4_T3_PKS4_S6_PKS3_PKT2_21rocsparse_index_base_S6_S6_S8_S6_S6_S8_S6_PS9_PNS_15floating_traitsIS9_E6data_tEPKSG_, .Lfunc_end50-_ZN9rocsparseL16kernel_calculateILi1024ELi32ELb0E21rocsparse_complex_numIfEiiEEvT4_T3_PKS4_S6_PKS3_PKT2_21rocsparse_index_base_S6_S6_S8_S6_S6_S8_S6_PS9_PNS_15floating_traitsIS9_E6data_tEPKSG_
                                        ; -- End function
	.section	.AMDGPU.csdata,"",@progbits
; Kernel info:
; codeLenInByte = 1760
; NumSgprs: 36
; NumVgprs: 27
; ScratchSize: 0
; MemoryBound: 0
; FloatMode: 240
; IeeeMode: 1
; LDSByteSize: 0 bytes/workgroup (compile time only)
; SGPRBlocks: 4
; VGPRBlocks: 3
; NumSGPRsForWavesPerEU: 36
; NumVGPRsForWavesPerEU: 27
; Occupancy: 16
; WaveLimiterHint : 1
; COMPUTE_PGM_RSRC2:SCRATCH_EN: 0
; COMPUTE_PGM_RSRC2:USER_SGPR: 15
; COMPUTE_PGM_RSRC2:TRAP_HANDLER: 0
; COMPUTE_PGM_RSRC2:TGID_X_EN: 1
; COMPUTE_PGM_RSRC2:TGID_Y_EN: 0
; COMPUTE_PGM_RSRC2:TGID_Z_EN: 0
; COMPUTE_PGM_RSRC2:TIDIG_COMP_CNT: 0
	.section	.text._ZN9rocsparseL16kernel_calculateILi1024ELi64ELb0E21rocsparse_complex_numIfEiiEEvT4_T3_PKS4_S6_PKS3_PKT2_21rocsparse_index_base_S6_S6_S8_S6_S6_S8_S6_PS9_PNS_15floating_traitsIS9_E6data_tEPKSG_,"axG",@progbits,_ZN9rocsparseL16kernel_calculateILi1024ELi64ELb0E21rocsparse_complex_numIfEiiEEvT4_T3_PKS4_S6_PKS3_PKT2_21rocsparse_index_base_S6_S6_S8_S6_S6_S8_S6_PS9_PNS_15floating_traitsIS9_E6data_tEPKSG_,comdat
	.globl	_ZN9rocsparseL16kernel_calculateILi1024ELi64ELb0E21rocsparse_complex_numIfEiiEEvT4_T3_PKS4_S6_PKS3_PKT2_21rocsparse_index_base_S6_S6_S8_S6_S6_S8_S6_PS9_PNS_15floating_traitsIS9_E6data_tEPKSG_ ; -- Begin function _ZN9rocsparseL16kernel_calculateILi1024ELi64ELb0E21rocsparse_complex_numIfEiiEEvT4_T3_PKS4_S6_PKS3_PKT2_21rocsparse_index_base_S6_S6_S8_S6_S6_S8_S6_PS9_PNS_15floating_traitsIS9_E6data_tEPKSG_
	.p2align	8
	.type	_ZN9rocsparseL16kernel_calculateILi1024ELi64ELb0E21rocsparse_complex_numIfEiiEEvT4_T3_PKS4_S6_PKS3_PKT2_21rocsparse_index_base_S6_S6_S8_S6_S6_S8_S6_PS9_PNS_15floating_traitsIS9_E6data_tEPKSG_,@function
_ZN9rocsparseL16kernel_calculateILi1024ELi64ELb0E21rocsparse_complex_numIfEiiEEvT4_T3_PKS4_S6_PKS3_PKT2_21rocsparse_index_base_S6_S6_S8_S6_S6_S8_S6_PS9_PNS_15floating_traitsIS9_E6data_tEPKSG_: ; @_ZN9rocsparseL16kernel_calculateILi1024ELi64ELb0E21rocsparse_complex_numIfEiiEEvT4_T3_PKS4_S6_PKS3_PKT2_21rocsparse_index_base_S6_S6_S8_S6_S6_S8_S6_PS9_PNS_15floating_traitsIS9_E6data_tEPKSG_
; %bb.0:
	s_load_b32 s2, s[0:1], 0x0
	v_lshrrev_b32_e32 v1, 6, v0
	s_mov_b32 s3, exec_lo
	s_delay_alu instid0(VALU_DEP_1) | instskip(SKIP_1) | instid1(VALU_DEP_1)
	v_lshl_or_b32 v15, s15, 10, v1
	s_waitcnt lgkmcnt(0)
	v_cmpx_gt_i32_e64 s2, v15
	s_cbranch_execz .LBB51_23
; %bb.1:
	s_clause 0x3
	s_load_b32 s3, s[0:1], 0x28
	s_load_b256 s[4:11], s[0:1], 0x50
	s_load_b256 s[12:19], s[0:1], 0x30
	;; [unrolled: 1-line block ×3, first 2 shown]
	v_and_b32_e32 v0, 63, v0
	s_mov_b32 s28, 0
	s_waitcnt lgkmcnt(0)
	s_delay_alu instid0(VALU_DEP_1)
	v_subrev_nc_u32_e32 v16, s3, v0
	s_branch .LBB51_3
.LBB51_2:                               ;   in Loop: Header=BB51_3 Depth=1
	s_or_b32 exec_lo, exec_lo, s29
	s_add_i32 s28, s28, 1
	s_delay_alu instid0(SALU_CYCLE_1)
	s_cmp_lg_u32 s28, 64
	s_cbranch_scc0 .LBB51_23
.LBB51_3:                               ; =>This Loop Header: Depth=1
                                        ;     Child Loop BB51_7 Depth 2
                                        ;       Child Loop BB51_10 Depth 3
	v_lshl_add_u32 v0, s28, 4, v15
	s_mov_b32 s29, exec_lo
	s_delay_alu instid0(VALU_DEP_1)
	v_cmpx_gt_i32_e64 s2, v0
	s_cbranch_execz .LBB51_2
; %bb.4:                                ;   in Loop: Header=BB51_3 Depth=1
	v_ashrrev_i32_e32 v1, 31, v0
	s_delay_alu instid0(VALU_DEP_1) | instskip(NEXT) | instid1(VALU_DEP_1)
	v_lshlrev_b64 v[2:3], 2, v[0:1]
	v_add_co_u32 v4, vcc_lo, s22, v2
	s_delay_alu instid0(VALU_DEP_2)
	v_add_co_ci_u32_e32 v5, vcc_lo, s23, v3, vcc_lo
	v_add_co_u32 v6, vcc_lo, s20, v2
	v_add_co_ci_u32_e32 v7, vcc_lo, s21, v3, vcc_lo
	global_load_b32 v1, v[4:5], off
	global_load_b32 v4, v[6:7], off
	s_waitcnt vmcnt(1)
	v_subrev_nc_u32_e32 v17, s3, v1
	s_waitcnt vmcnt(0)
	v_add_nc_u32_e32 v1, v16, v4
	s_delay_alu instid0(VALU_DEP_1)
	v_cmp_lt_i32_e32 vcc_lo, v1, v17
	s_and_b32 exec_lo, exec_lo, vcc_lo
	s_cbranch_execz .LBB51_2
; %bb.5:                                ;   in Loop: Header=BB51_3 Depth=1
	v_add_co_u32 v4, vcc_lo, s14, v2
	v_add_co_ci_u32_e32 v5, vcc_lo, s15, v3, vcc_lo
	v_add_co_u32 v2, vcc_lo, s12, v2
	v_add_co_ci_u32_e32 v3, vcc_lo, s13, v3, vcc_lo
	s_mov_b32 s30, 0
	global_load_b32 v4, v[4:5], off
	global_load_b32 v2, v[2:3], off
	s_waitcnt vmcnt(1)
	v_subrev_nc_u32_e32 v18, s3, v4
	s_waitcnt vmcnt(0)
	v_cmp_lt_i32_e64 s0, v2, v4
	v_subrev_nc_u32_e32 v19, s3, v2
	s_branch .LBB51_7
.LBB51_6:                               ;   in Loop: Header=BB51_7 Depth=2
	s_or_b32 exec_lo, exec_lo, s1
	v_add_nc_u32_e32 v1, 64, v1
	s_delay_alu instid0(VALU_DEP_1) | instskip(SKIP_1) | instid1(SALU_CYCLE_1)
	v_cmp_ge_i32_e32 vcc_lo, v1, v17
	s_or_b32 s30, vcc_lo, s30
	s_and_not1_b32 exec_lo, exec_lo, s30
	s_cbranch_execz .LBB51_2
.LBB51_7:                               ;   Parent Loop BB51_3 Depth=1
                                        ; =>  This Loop Header: Depth=2
                                        ;       Child Loop BB51_10 Depth 3
	v_ashrrev_i32_e32 v2, 31, v1
	v_dual_mov_b32 v20, 0 :: v_dual_mov_b32 v21, 0
	s_delay_alu instid0(VALU_DEP_2) | instskip(NEXT) | instid1(VALU_DEP_1)
	v_lshlrev_b64 v[3:4], 2, v[1:2]
	v_add_co_u32 v3, vcc_lo, s24, v3
	s_delay_alu instid0(VALU_DEP_2) | instskip(SKIP_4) | instid1(VALU_DEP_2)
	v_add_co_ci_u32_e32 v4, vcc_lo, s25, v4, vcc_lo
	global_load_b32 v3, v[3:4], off
	s_waitcnt vmcnt(0)
	v_subrev_nc_u32_e32 v6, s3, v3
	v_lshlrev_b64 v[2:3], 3, v[1:2]
	v_ashrrev_i32_e32 v7, 31, v6
	s_delay_alu instid0(VALU_DEP_1) | instskip(NEXT) | instid1(VALU_DEP_1)
	v_lshlrev_b64 v[4:5], 2, v[6:7]
	v_add_co_u32 v7, vcc_lo, s14, v4
	s_delay_alu instid0(VALU_DEP_2)
	v_add_co_ci_u32_e32 v8, vcc_lo, s15, v5, vcc_lo
	v_add_co_u32 v9, vcc_lo, s4, v4
	v_add_co_ci_u32_e32 v10, vcc_lo, s5, v5, vcc_lo
	global_load_b32 v7, v[7:8], off
	v_add_co_u32 v4, vcc_lo, s18, v4
	v_add_co_ci_u32_e32 v5, vcc_lo, s19, v5, vcc_lo
	v_add_co_u32 v11, vcc_lo, s26, v2
	v_add_co_ci_u32_e32 v12, vcc_lo, s27, v3, vcc_lo
	global_load_b32 v9, v[9:10], off
	global_load_b32 v10, v[4:5], off
	s_waitcnt vmcnt(2)
	v_subrev_nc_u32_e32 v7, s3, v7
	s_delay_alu instid0(VALU_DEP_1) | instskip(NEXT) | instid1(VALU_DEP_1)
	v_ashrrev_i32_e32 v8, 31, v7
	v_lshlrev_b64 v[7:8], 3, v[7:8]
	s_delay_alu instid0(VALU_DEP_1) | instskip(NEXT) | instid1(VALU_DEP_2)
	v_add_co_u32 v7, vcc_lo, s10, v7
	v_add_co_ci_u32_e32 v8, vcc_lo, s11, v8, vcc_lo
	s_waitcnt vmcnt(0)
	v_cmp_lt_i32_e32 vcc_lo, v10, v9
	global_load_b64 v[4:5], v[11:12], off
	global_load_b64 v[7:8], v[7:8], off
	s_and_b32 s1, s0, vcc_lo
	s_delay_alu instid0(SALU_CYCLE_1)
	s_and_saveexec_b32 s31, s1
	s_cbranch_execz .LBB51_13
; %bb.8:                                ;   in Loop: Header=BB51_7 Depth=2
	v_subrev_nc_u32_e32 v22, s3, v9
	v_subrev_nc_u32_e32 v9, s3, v10
	v_dual_mov_b32 v20, 0 :: v_dual_mov_b32 v11, v19
	v_mov_b32_e32 v21, 0
	s_mov_b32 s33, 0
	s_branch .LBB51_10
.LBB51_9:                               ;   in Loop: Header=BB51_10 Depth=3
	s_or_b32 exec_lo, exec_lo, s1
	v_cmp_le_i32_e32 vcc_lo, v10, v23
	v_add_co_ci_u32_e32 v11, vcc_lo, 0, v11, vcc_lo
	v_cmp_ge_i32_e32 vcc_lo, v10, v23
	v_add_co_ci_u32_e32 v9, vcc_lo, 0, v9, vcc_lo
	s_delay_alu instid0(VALU_DEP_3) | instskip(NEXT) | instid1(VALU_DEP_2)
	v_cmp_ge_i32_e32 vcc_lo, v11, v18
	v_cmp_ge_i32_e64 s1, v9, v22
	s_delay_alu instid0(VALU_DEP_1) | instskip(NEXT) | instid1(SALU_CYCLE_1)
	s_or_b32 s1, vcc_lo, s1
	s_and_b32 s1, exec_lo, s1
	s_delay_alu instid0(SALU_CYCLE_1) | instskip(NEXT) | instid1(SALU_CYCLE_1)
	s_or_b32 s33, s1, s33
	s_and_not1_b32 exec_lo, exec_lo, s33
	s_cbranch_execz .LBB51_12
.LBB51_10:                              ;   Parent Loop BB51_3 Depth=1
                                        ;     Parent Loop BB51_7 Depth=2
                                        ; =>    This Inner Loop Header: Depth=3
	s_delay_alu instid0(VALU_DEP_2) | instskip(SKIP_2) | instid1(VALU_DEP_2)
	v_ashrrev_i32_e32 v12, 31, v11
	v_ashrrev_i32_e32 v10, 31, v9
	s_mov_b32 s1, exec_lo
	v_lshlrev_b64 v[23:24], 2, v[11:12]
	s_delay_alu instid0(VALU_DEP_2) | instskip(NEXT) | instid1(VALU_DEP_2)
	v_lshlrev_b64 v[13:14], 2, v[9:10]
	v_add_co_u32 v23, vcc_lo, s16, v23
	s_delay_alu instid0(VALU_DEP_3) | instskip(NEXT) | instid1(VALU_DEP_3)
	v_add_co_ci_u32_e32 v24, vcc_lo, s17, v24, vcc_lo
	v_add_co_u32 v25, vcc_lo, s6, v13
	s_delay_alu instid0(VALU_DEP_4)
	v_add_co_ci_u32_e32 v26, vcc_lo, s7, v14, vcc_lo
	global_load_b32 v10, v[23:24], off
	global_load_b32 v23, v[25:26], off
	s_waitcnt vmcnt(0)
	v_cmpx_eq_u32_e64 v10, v23
	s_cbranch_execz .LBB51_9
; %bb.11:                               ;   in Loop: Header=BB51_10 Depth=3
	v_add_co_u32 v13, vcc_lo, s8, v13
	v_add_co_ci_u32_e32 v14, vcc_lo, s9, v14, vcc_lo
	v_lshlrev_b64 v[24:25], 3, v[11:12]
	global_load_b32 v13, v[13:14], off
	v_add_co_u32 v24, vcc_lo, s10, v24
	v_add_co_ci_u32_e32 v25, vcc_lo, s11, v25, vcc_lo
	s_waitcnt vmcnt(0)
	v_ashrrev_i32_e32 v14, 31, v13
	s_delay_alu instid0(VALU_DEP_1) | instskip(NEXT) | instid1(VALU_DEP_1)
	v_lshlrev_b64 v[12:13], 3, v[13:14]
	v_add_co_u32 v12, vcc_lo, s10, v12
	s_delay_alu instid0(VALU_DEP_2)
	v_add_co_ci_u32_e32 v13, vcc_lo, s11, v13, vcc_lo
	s_clause 0x1
	global_load_b64 v[24:25], v[24:25], off
	global_load_b64 v[12:13], v[12:13], off
	s_waitcnt vmcnt(0)
	v_fmac_f32_e32 v20, v24, v12
	v_fmac_f32_e32 v21, v25, v12
	s_delay_alu instid0(VALU_DEP_2) | instskip(NEXT) | instid1(VALU_DEP_2)
	v_fma_f32 v20, -v25, v13, v20
	v_fmac_f32_e32 v21, v24, v13
	s_branch .LBB51_9
.LBB51_12:                              ;   in Loop: Header=BB51_7 Depth=2
	s_or_b32 exec_lo, exec_lo, s33
.LBB51_13:                              ;   in Loop: Header=BB51_7 Depth=2
	s_delay_alu instid0(SALU_CYCLE_1)
	s_or_b32 exec_lo, exec_lo, s31
	s_waitcnt vmcnt(1)
	v_dual_sub_f32 v4, v4, v20 :: v_dual_sub_f32 v5, v5, v21
	s_mov_b32 s1, exec_lo
	v_cmpx_gt_i32_e64 v0, v6
	s_cbranch_execz .LBB51_15
; %bb.14:                               ;   in Loop: Header=BB51_7 Depth=2
	s_waitcnt vmcnt(0)
	v_mul_f32_e32 v6, v8, v8
	s_delay_alu instid0(VALU_DEP_1) | instskip(NEXT) | instid1(VALU_DEP_1)
	v_fmac_f32_e32 v6, v7, v7
	v_div_scale_f32 v9, null, v6, v6, 1.0
	v_div_scale_f32 v12, vcc_lo, 1.0, v6, 1.0
	s_delay_alu instid0(VALU_DEP_2) | instskip(SKIP_2) | instid1(VALU_DEP_1)
	v_rcp_f32_e32 v10, v9
	s_waitcnt_depctr 0xfff
	v_fma_f32 v11, -v9, v10, 1.0
	v_fmac_f32_e32 v10, v11, v10
	s_delay_alu instid0(VALU_DEP_1) | instskip(NEXT) | instid1(VALU_DEP_1)
	v_mul_f32_e32 v11, v12, v10
	v_fma_f32 v13, -v9, v11, v12
	s_delay_alu instid0(VALU_DEP_1) | instskip(NEXT) | instid1(VALU_DEP_1)
	v_fmac_f32_e32 v11, v13, v10
	v_fma_f32 v9, -v9, v11, v12
	s_delay_alu instid0(VALU_DEP_1) | instskip(SKIP_2) | instid1(VALU_DEP_3)
	v_div_fmas_f32 v9, v9, v10, v11
	v_mul_f32_e32 v10, v8, v5
	v_mul_f32_e64 v8, v8, -v4
	v_div_fixup_f32 v6, v9, v6, 1.0
	s_delay_alu instid0(VALU_DEP_3) | instskip(NEXT) | instid1(VALU_DEP_3)
	v_fmac_f32_e32 v10, v4, v7
	v_fmac_f32_e32 v8, v5, v7
	s_delay_alu instid0(VALU_DEP_2) | instskip(NEXT) | instid1(VALU_DEP_2)
	v_mul_f32_e32 v4, v6, v10
	v_mul_f32_e32 v5, v6, v8
.LBB51_15:                              ;   in Loop: Header=BB51_7 Depth=2
	s_or_b32 exec_lo, exec_lo, s1
	s_delay_alu instid0(VALU_DEP_2)
	v_cmp_gt_f32_e32 vcc_lo, 0, v4
                                        ; implicit-def: $vgpr8
	s_mov_b32 s1, exec_lo
	v_cndmask_b32_e64 v6, v4, -v4, vcc_lo
	v_cmp_gt_f32_e32 vcc_lo, 0, v5
	s_waitcnt vmcnt(0)
	v_cndmask_b32_e64 v7, v5, -v5, vcc_lo
	s_delay_alu instid0(VALU_DEP_1)
	v_cmpx_ngt_f32_e32 v6, v7
	s_xor_b32 s31, exec_lo, s1
	s_cbranch_execnz .LBB51_18
; %bb.16:                               ;   in Loop: Header=BB51_7 Depth=2
	s_and_not1_saveexec_b32 s31, s31
	s_cbranch_execnz .LBB51_21
.LBB51_17:                              ;   in Loop: Header=BB51_7 Depth=2
	s_or_b32 exec_lo, exec_lo, s31
	v_cmp_class_f32_e64 s31, v8, 0x1f8
	s_delay_alu instid0(VALU_DEP_1)
	s_and_saveexec_b32 s1, s31
	s_cbranch_execz .LBB51_6
	s_branch .LBB51_22
.LBB51_18:                              ;   in Loop: Header=BB51_7 Depth=2
	v_mov_b32_e32 v8, 0
	s_mov_b32 s33, exec_lo
	v_cmpx_neq_f32_e32 0, v5
	s_cbranch_execz .LBB51_20
; %bb.19:                               ;   in Loop: Header=BB51_7 Depth=2
	v_div_scale_f32 v8, null, v7, v7, v6
	v_div_scale_f32 v11, vcc_lo, v6, v7, v6
	s_delay_alu instid0(VALU_DEP_2) | instskip(SKIP_2) | instid1(VALU_DEP_1)
	v_rcp_f32_e32 v9, v8
	s_waitcnt_depctr 0xfff
	v_fma_f32 v10, -v8, v9, 1.0
	v_fmac_f32_e32 v9, v10, v9
	s_delay_alu instid0(VALU_DEP_1) | instskip(NEXT) | instid1(VALU_DEP_1)
	v_mul_f32_e32 v10, v11, v9
	v_fma_f32 v12, -v8, v10, v11
	s_delay_alu instid0(VALU_DEP_1) | instskip(NEXT) | instid1(VALU_DEP_1)
	v_fmac_f32_e32 v10, v12, v9
	v_fma_f32 v8, -v8, v10, v11
	s_delay_alu instid0(VALU_DEP_1) | instskip(NEXT) | instid1(VALU_DEP_1)
	v_div_fmas_f32 v8, v8, v9, v10
	v_div_fixup_f32 v6, v8, v7, v6
	s_delay_alu instid0(VALU_DEP_1) | instskip(NEXT) | instid1(VALU_DEP_1)
	v_fma_f32 v6, v6, v6, 1.0
	v_mul_f32_e32 v8, 0x4f800000, v6
	v_cmp_gt_f32_e32 vcc_lo, 0xf800000, v6
	s_delay_alu instid0(VALU_DEP_2) | instskip(NEXT) | instid1(VALU_DEP_1)
	v_cndmask_b32_e32 v6, v6, v8, vcc_lo
	v_sqrt_f32_e32 v8, v6
	s_waitcnt_depctr 0xfff
	v_add_nc_u32_e32 v9, -1, v8
	v_add_nc_u32_e32 v10, 1, v8
	s_delay_alu instid0(VALU_DEP_2) | instskip(NEXT) | instid1(VALU_DEP_2)
	v_fma_f32 v11, -v9, v8, v6
	v_fma_f32 v12, -v10, v8, v6
	s_delay_alu instid0(VALU_DEP_2) | instskip(NEXT) | instid1(VALU_DEP_1)
	v_cmp_ge_f32_e64 s1, 0, v11
	v_cndmask_b32_e64 v8, v8, v9, s1
	s_delay_alu instid0(VALU_DEP_3) | instskip(NEXT) | instid1(VALU_DEP_1)
	v_cmp_lt_f32_e64 s1, 0, v12
	v_cndmask_b32_e64 v8, v8, v10, s1
	s_delay_alu instid0(VALU_DEP_1) | instskip(NEXT) | instid1(VALU_DEP_1)
	v_mul_f32_e32 v9, 0x37800000, v8
	v_cndmask_b32_e32 v8, v8, v9, vcc_lo
	v_cmp_class_f32_e64 vcc_lo, v6, 0x260
	s_delay_alu instid0(VALU_DEP_2) | instskip(NEXT) | instid1(VALU_DEP_1)
	v_cndmask_b32_e32 v6, v8, v6, vcc_lo
	v_mul_f32_e32 v8, v7, v6
.LBB51_20:                              ;   in Loop: Header=BB51_7 Depth=2
	s_or_b32 exec_lo, exec_lo, s33
                                        ; implicit-def: $vgpr6
                                        ; implicit-def: $vgpr7
	s_and_not1_saveexec_b32 s31, s31
	s_cbranch_execz .LBB51_17
.LBB51_21:                              ;   in Loop: Header=BB51_7 Depth=2
	v_div_scale_f32 v8, null, v6, v6, v7
	v_div_scale_f32 v11, vcc_lo, v7, v6, v7
	s_delay_alu instid0(VALU_DEP_2) | instskip(SKIP_2) | instid1(VALU_DEP_1)
	v_rcp_f32_e32 v9, v8
	s_waitcnt_depctr 0xfff
	v_fma_f32 v10, -v8, v9, 1.0
	v_fmac_f32_e32 v9, v10, v9
	s_delay_alu instid0(VALU_DEP_1) | instskip(NEXT) | instid1(VALU_DEP_1)
	v_mul_f32_e32 v10, v11, v9
	v_fma_f32 v12, -v8, v10, v11
	s_delay_alu instid0(VALU_DEP_1) | instskip(NEXT) | instid1(VALU_DEP_1)
	v_fmac_f32_e32 v10, v12, v9
	v_fma_f32 v8, -v8, v10, v11
	s_delay_alu instid0(VALU_DEP_1) | instskip(NEXT) | instid1(VALU_DEP_1)
	v_div_fmas_f32 v8, v8, v9, v10
	v_div_fixup_f32 v7, v8, v6, v7
	s_delay_alu instid0(VALU_DEP_1) | instskip(NEXT) | instid1(VALU_DEP_1)
	v_fma_f32 v7, v7, v7, 1.0
	v_mul_f32_e32 v8, 0x4f800000, v7
	v_cmp_gt_f32_e32 vcc_lo, 0xf800000, v7
	s_delay_alu instid0(VALU_DEP_2) | instskip(NEXT) | instid1(VALU_DEP_1)
	v_cndmask_b32_e32 v7, v7, v8, vcc_lo
	v_sqrt_f32_e32 v8, v7
	s_waitcnt_depctr 0xfff
	v_add_nc_u32_e32 v9, -1, v8
	v_add_nc_u32_e32 v10, 1, v8
	s_delay_alu instid0(VALU_DEP_2) | instskip(NEXT) | instid1(VALU_DEP_2)
	v_fma_f32 v11, -v9, v8, v7
	v_fma_f32 v12, -v10, v8, v7
	s_delay_alu instid0(VALU_DEP_2) | instskip(NEXT) | instid1(VALU_DEP_1)
	v_cmp_ge_f32_e64 s1, 0, v11
	v_cndmask_b32_e64 v8, v8, v9, s1
	s_delay_alu instid0(VALU_DEP_3) | instskip(NEXT) | instid1(VALU_DEP_1)
	v_cmp_lt_f32_e64 s1, 0, v12
	v_cndmask_b32_e64 v8, v8, v10, s1
	s_delay_alu instid0(VALU_DEP_1) | instskip(NEXT) | instid1(VALU_DEP_1)
	v_mul_f32_e32 v9, 0x37800000, v8
	v_cndmask_b32_e32 v8, v8, v9, vcc_lo
	v_cmp_class_f32_e64 vcc_lo, v7, 0x260
	s_delay_alu instid0(VALU_DEP_2) | instskip(NEXT) | instid1(VALU_DEP_1)
	v_cndmask_b32_e32 v7, v8, v7, vcc_lo
	v_mul_f32_e32 v8, v6, v7
	s_or_b32 exec_lo, exec_lo, s31
	s_delay_alu instid0(VALU_DEP_1) | instskip(NEXT) | instid1(VALU_DEP_1)
	v_cmp_class_f32_e64 s31, v8, 0x1f8
	s_and_saveexec_b32 s1, s31
	s_cbranch_execz .LBB51_6
.LBB51_22:                              ;   in Loop: Header=BB51_7 Depth=2
	v_add_co_u32 v2, vcc_lo, s10, v2
	v_add_co_ci_u32_e32 v3, vcc_lo, s11, v3, vcc_lo
	global_store_b64 v[2:3], v[4:5], off
	s_branch .LBB51_6
.LBB51_23:
	s_nop 0
	s_sendmsg sendmsg(MSG_DEALLOC_VGPRS)
	s_endpgm
	.section	.rodata,"a",@progbits
	.p2align	6, 0x0
	.amdhsa_kernel _ZN9rocsparseL16kernel_calculateILi1024ELi64ELb0E21rocsparse_complex_numIfEiiEEvT4_T3_PKS4_S6_PKS3_PKT2_21rocsparse_index_base_S6_S6_S8_S6_S6_S8_S6_PS9_PNS_15floating_traitsIS9_E6data_tEPKSG_
		.amdhsa_group_segment_fixed_size 0
		.amdhsa_private_segment_fixed_size 0
		.amdhsa_kernarg_size 128
		.amdhsa_user_sgpr_count 15
		.amdhsa_user_sgpr_dispatch_ptr 0
		.amdhsa_user_sgpr_queue_ptr 0
		.amdhsa_user_sgpr_kernarg_segment_ptr 1
		.amdhsa_user_sgpr_dispatch_id 0
		.amdhsa_user_sgpr_private_segment_size 0
		.amdhsa_wavefront_size32 1
		.amdhsa_uses_dynamic_stack 0
		.amdhsa_enable_private_segment 0
		.amdhsa_system_sgpr_workgroup_id_x 1
		.amdhsa_system_sgpr_workgroup_id_y 0
		.amdhsa_system_sgpr_workgroup_id_z 0
		.amdhsa_system_sgpr_workgroup_info 0
		.amdhsa_system_vgpr_workitem_id 0
		.amdhsa_next_free_vgpr 27
		.amdhsa_next_free_sgpr 34
		.amdhsa_reserve_vcc 1
		.amdhsa_float_round_mode_32 0
		.amdhsa_float_round_mode_16_64 0
		.amdhsa_float_denorm_mode_32 3
		.amdhsa_float_denorm_mode_16_64 3
		.amdhsa_dx10_clamp 1
		.amdhsa_ieee_mode 1
		.amdhsa_fp16_overflow 0
		.amdhsa_workgroup_processor_mode 1
		.amdhsa_memory_ordered 1
		.amdhsa_forward_progress 0
		.amdhsa_shared_vgpr_count 0
		.amdhsa_exception_fp_ieee_invalid_op 0
		.amdhsa_exception_fp_denorm_src 0
		.amdhsa_exception_fp_ieee_div_zero 0
		.amdhsa_exception_fp_ieee_overflow 0
		.amdhsa_exception_fp_ieee_underflow 0
		.amdhsa_exception_fp_ieee_inexact 0
		.amdhsa_exception_int_div_zero 0
	.end_amdhsa_kernel
	.section	.text._ZN9rocsparseL16kernel_calculateILi1024ELi64ELb0E21rocsparse_complex_numIfEiiEEvT4_T3_PKS4_S6_PKS3_PKT2_21rocsparse_index_base_S6_S6_S8_S6_S6_S8_S6_PS9_PNS_15floating_traitsIS9_E6data_tEPKSG_,"axG",@progbits,_ZN9rocsparseL16kernel_calculateILi1024ELi64ELb0E21rocsparse_complex_numIfEiiEEvT4_T3_PKS4_S6_PKS3_PKT2_21rocsparse_index_base_S6_S6_S8_S6_S6_S8_S6_PS9_PNS_15floating_traitsIS9_E6data_tEPKSG_,comdat
.Lfunc_end51:
	.size	_ZN9rocsparseL16kernel_calculateILi1024ELi64ELb0E21rocsparse_complex_numIfEiiEEvT4_T3_PKS4_S6_PKS3_PKT2_21rocsparse_index_base_S6_S6_S8_S6_S6_S8_S6_PS9_PNS_15floating_traitsIS9_E6data_tEPKSG_, .Lfunc_end51-_ZN9rocsparseL16kernel_calculateILi1024ELi64ELb0E21rocsparse_complex_numIfEiiEEvT4_T3_PKS4_S6_PKS3_PKT2_21rocsparse_index_base_S6_S6_S8_S6_S6_S8_S6_PS9_PNS_15floating_traitsIS9_E6data_tEPKSG_
                                        ; -- End function
	.section	.AMDGPU.csdata,"",@progbits
; Kernel info:
; codeLenInByte = 1760
; NumSgprs: 36
; NumVgprs: 27
; ScratchSize: 0
; MemoryBound: 0
; FloatMode: 240
; IeeeMode: 1
; LDSByteSize: 0 bytes/workgroup (compile time only)
; SGPRBlocks: 4
; VGPRBlocks: 3
; NumSGPRsForWavesPerEU: 36
; NumVGPRsForWavesPerEU: 27
; Occupancy: 16
; WaveLimiterHint : 1
; COMPUTE_PGM_RSRC2:SCRATCH_EN: 0
; COMPUTE_PGM_RSRC2:USER_SGPR: 15
; COMPUTE_PGM_RSRC2:TRAP_HANDLER: 0
; COMPUTE_PGM_RSRC2:TGID_X_EN: 1
; COMPUTE_PGM_RSRC2:TGID_Y_EN: 0
; COMPUTE_PGM_RSRC2:TGID_Z_EN: 0
; COMPUTE_PGM_RSRC2:TIDIG_COMP_CNT: 0
	.section	.text._ZN9rocsparseL20kernel_calculate_cooILi1024ELi32ELb0E21rocsparse_complex_numIfEiiEEvT4_T3_PKS3_S6_PKT2_21rocsparse_index_base_PKS4_SC_S6_SC_SC_S6_SC_PS7_PNS_15floating_traitsIS7_E6data_tEPKSG_,"axG",@progbits,_ZN9rocsparseL20kernel_calculate_cooILi1024ELi32ELb0E21rocsparse_complex_numIfEiiEEvT4_T3_PKS3_S6_PKT2_21rocsparse_index_base_PKS4_SC_S6_SC_SC_S6_SC_PS7_PNS_15floating_traitsIS7_E6data_tEPKSG_,comdat
	.globl	_ZN9rocsparseL20kernel_calculate_cooILi1024ELi32ELb0E21rocsparse_complex_numIfEiiEEvT4_T3_PKS3_S6_PKT2_21rocsparse_index_base_PKS4_SC_S6_SC_SC_S6_SC_PS7_PNS_15floating_traitsIS7_E6data_tEPKSG_ ; -- Begin function _ZN9rocsparseL20kernel_calculate_cooILi1024ELi32ELb0E21rocsparse_complex_numIfEiiEEvT4_T3_PKS3_S6_PKT2_21rocsparse_index_base_PKS4_SC_S6_SC_SC_S6_SC_PS7_PNS_15floating_traitsIS7_E6data_tEPKSG_
	.p2align	8
	.type	_ZN9rocsparseL20kernel_calculate_cooILi1024ELi32ELb0E21rocsparse_complex_numIfEiiEEvT4_T3_PKS3_S6_PKT2_21rocsparse_index_base_PKS4_SC_S6_SC_SC_S6_SC_PS7_PNS_15floating_traitsIS7_E6data_tEPKSG_,@function
_ZN9rocsparseL20kernel_calculate_cooILi1024ELi32ELb0E21rocsparse_complex_numIfEiiEEvT4_T3_PKS3_S6_PKT2_21rocsparse_index_base_PKS4_SC_S6_SC_SC_S6_SC_PS7_PNS_15floating_traitsIS7_E6data_tEPKSG_: ; @_ZN9rocsparseL20kernel_calculate_cooILi1024ELi32ELb0E21rocsparse_complex_numIfEiiEEvT4_T3_PKS3_S6_PKT2_21rocsparse_index_base_PKS4_SC_S6_SC_SC_S6_SC_PS7_PNS_15floating_traitsIS7_E6data_tEPKSG_
; %bb.0:
	s_load_b32 s24, s[0:1], 0x4
	v_lshl_or_b32 v0, s15, 16, v0
	s_mov_b32 s2, exec_lo
	s_waitcnt lgkmcnt(0)
	s_delay_alu instid0(VALU_DEP_1)
	v_cmpx_gt_i32_e64 s24, v0
	s_cbranch_execz .LBB52_20
; %bb.1:
	s_clause 0x4
	s_load_b256 s[4:11], s[0:1], 0x48
	s_load_b128 s[20:23], s[0:1], 0x8
	s_load_b64 s[2:3], s[0:1], 0x18
	s_load_b256 s[12:19], s[0:1], 0x28
	s_load_b32 s1, s[0:1], 0x20
	s_mov_b32 s25, 0
	s_branch .LBB52_3
.LBB52_2:                               ;   in Loop: Header=BB52_3 Depth=1
	s_or_b32 exec_lo, exec_lo, s26
	v_add_nc_u32_e32 v0, 0x400, v0
	s_add_i32 s25, s25, 1
	s_delay_alu instid0(SALU_CYCLE_1)
	s_cmp_lg_u32 s25, 64
	s_cbranch_scc0 .LBB52_20
.LBB52_3:                               ; =>This Loop Header: Depth=1
                                        ;     Child Loop BB52_7 Depth 2
	s_mov_b32 s26, exec_lo
	v_cmpx_gt_i32_e64 s24, v0
	s_cbranch_execz .LBB52_2
; %bb.4:                                ;   in Loop: Header=BB52_3 Depth=1
	v_ashrrev_i32_e32 v1, 31, v0
	s_delay_alu instid0(VALU_DEP_1) | instskip(SKIP_1) | instid1(VALU_DEP_1)
	v_lshlrev_b64 v[2:3], 2, v[0:1]
	s_waitcnt lgkmcnt(0)
	v_add_co_u32 v4, vcc_lo, s22, v2
	s_delay_alu instid0(VALU_DEP_2)
	v_add_co_ci_u32_e32 v5, vcc_lo, s23, v3, vcc_lo
	v_add_co_u32 v2, vcc_lo, s20, v2
	v_add_co_ci_u32_e32 v3, vcc_lo, s21, v3, vcc_lo
	global_load_b32 v13, v[4:5], off
	global_load_b32 v14, v[2:3], off
	s_waitcnt vmcnt(1)
	v_subrev_nc_u32_e32 v2, s1, v13
	s_delay_alu instid0(VALU_DEP_1) | instskip(NEXT) | instid1(VALU_DEP_1)
	v_ashrrev_i32_e32 v3, 31, v2
	v_lshlrev_b64 v[3:4], 2, v[2:3]
	v_lshlrev_b64 v[1:2], 3, v[0:1]
	s_delay_alu instid0(VALU_DEP_2) | instskip(NEXT) | instid1(VALU_DEP_3)
	v_add_co_u32 v5, vcc_lo, s14, v3
	v_add_co_ci_u32_e32 v6, vcc_lo, s15, v4, vcc_lo
	global_load_b32 v10, v[5:6], off
	s_waitcnt vmcnt(1)
	v_subrev_nc_u32_e32 v5, s1, v14
	s_delay_alu instid0(VALU_DEP_1) | instskip(NEXT) | instid1(VALU_DEP_1)
	v_ashrrev_i32_e32 v6, 31, v5
	v_lshlrev_b64 v[5:6], 2, v[5:6]
	s_delay_alu instid0(VALU_DEP_1) | instskip(NEXT) | instid1(VALU_DEP_2)
	v_add_co_u32 v7, vcc_lo, s14, v5
	v_add_co_ci_u32_e32 v8, vcc_lo, s15, v6, vcc_lo
	global_load_b32 v7, v[7:8], off
	v_add_co_u32 v8, vcc_lo, s4, v3
	v_add_co_ci_u32_e32 v9, vcc_lo, s5, v4, vcc_lo
	v_add_co_u32 v5, vcc_lo, s12, v5
	v_add_co_ci_u32_e32 v6, vcc_lo, s13, v6, vcc_lo
	v_add_co_u32 v3, vcc_lo, s18, v3
	v_add_co_ci_u32_e32 v4, vcc_lo, s19, v4, vcc_lo
	v_add_co_u32 v15, vcc_lo, s2, v1
	v_add_co_ci_u32_e32 v16, vcc_lo, s3, v2, vcc_lo
	s_waitcnt vmcnt(1)
	v_subrev_nc_u32_e32 v10, s1, v10
	s_delay_alu instid0(VALU_DEP_1) | instskip(NEXT) | instid1(VALU_DEP_1)
	v_ashrrev_i32_e32 v11, 31, v10
	v_lshlrev_b64 v[11:12], 3, v[10:11]
	global_load_b32 v9, v[8:9], off
	global_load_b32 v8, v[5:6], off
	;; [unrolled: 1-line block ×3, first 2 shown]
	v_add_co_u32 v5, vcc_lo, s10, v11
	v_add_co_ci_u32_e32 v6, vcc_lo, s11, v12, vcc_lo
	global_load_b64 v[3:4], v[15:16], off
	global_load_b64 v[5:6], v[5:6], off
	v_dual_mov_b32 v15, 0 :: v_dual_mov_b32 v16, 0
	s_waitcnt vmcnt(3)
	v_cmp_lt_i32_e32 vcc_lo, v8, v7
	s_waitcnt vmcnt(2)
	v_cmp_lt_i32_e64 s0, v10, v9
	s_delay_alu instid0(VALU_DEP_1) | instskip(NEXT) | instid1(SALU_CYCLE_1)
	s_and_b32 s0, vcc_lo, s0
	s_and_saveexec_b32 s27, s0
	s_cbranch_execz .LBB52_10
; %bb.5:                                ;   in Loop: Header=BB52_3 Depth=1
	v_subrev_nc_u32_e32 v17, s1, v9
	v_subrev_nc_u32_e32 v18, s1, v7
	v_subrev_nc_u32_e32 v7, s1, v10
	v_subrev_nc_u32_e32 v9, s1, v8
	v_dual_mov_b32 v15, 0 :: v_dual_mov_b32 v16, 0
	s_mov_b32 s28, 0
	s_branch .LBB52_7
.LBB52_6:                               ;   in Loop: Header=BB52_7 Depth=2
	s_or_b32 exec_lo, exec_lo, s0
	v_cmp_le_i32_e32 vcc_lo, v8, v19
	v_add_co_ci_u32_e32 v9, vcc_lo, 0, v9, vcc_lo
	v_cmp_ge_i32_e32 vcc_lo, v8, v19
	v_add_co_ci_u32_e32 v7, vcc_lo, 0, v7, vcc_lo
	s_delay_alu instid0(VALU_DEP_3) | instskip(NEXT) | instid1(VALU_DEP_2)
	v_cmp_ge_i32_e32 vcc_lo, v9, v18
	v_cmp_ge_i32_e64 s0, v7, v17
	s_delay_alu instid0(VALU_DEP_1) | instskip(NEXT) | instid1(SALU_CYCLE_1)
	s_or_b32 s0, vcc_lo, s0
	s_and_b32 s0, exec_lo, s0
	s_delay_alu instid0(SALU_CYCLE_1) | instskip(NEXT) | instid1(SALU_CYCLE_1)
	s_or_b32 s28, s0, s28
	s_and_not1_b32 exec_lo, exec_lo, s28
	s_cbranch_execz .LBB52_9
.LBB52_7:                               ;   Parent Loop BB52_3 Depth=1
                                        ; =>  This Inner Loop Header: Depth=2
	s_delay_alu instid0(VALU_DEP_2) | instskip(SKIP_2) | instid1(VALU_DEP_2)
	v_ashrrev_i32_e32 v10, 31, v9
	v_ashrrev_i32_e32 v8, 31, v7
	s_mov_b32 s0, exec_lo
	v_lshlrev_b64 v[19:20], 2, v[9:10]
	s_delay_alu instid0(VALU_DEP_2) | instskip(NEXT) | instid1(VALU_DEP_2)
	v_lshlrev_b64 v[11:12], 2, v[7:8]
	v_add_co_u32 v19, vcc_lo, s16, v19
	s_delay_alu instid0(VALU_DEP_3) | instskip(NEXT) | instid1(VALU_DEP_3)
	v_add_co_ci_u32_e32 v20, vcc_lo, s17, v20, vcc_lo
	v_add_co_u32 v21, vcc_lo, s6, v11
	s_delay_alu instid0(VALU_DEP_4)
	v_add_co_ci_u32_e32 v22, vcc_lo, s7, v12, vcc_lo
	global_load_b32 v8, v[19:20], off
	global_load_b32 v19, v[21:22], off
	s_waitcnt vmcnt(0)
	v_cmpx_eq_u32_e64 v8, v19
	s_cbranch_execz .LBB52_6
; %bb.8:                                ;   in Loop: Header=BB52_7 Depth=2
	v_add_co_u32 v11, vcc_lo, s8, v11
	v_add_co_ci_u32_e32 v12, vcc_lo, s9, v12, vcc_lo
	v_lshlrev_b64 v[20:21], 3, v[9:10]
	global_load_b32 v11, v[11:12], off
	v_add_co_u32 v20, vcc_lo, s10, v20
	v_add_co_ci_u32_e32 v21, vcc_lo, s11, v21, vcc_lo
	s_waitcnt vmcnt(0)
	v_ashrrev_i32_e32 v12, 31, v11
	s_delay_alu instid0(VALU_DEP_1) | instskip(NEXT) | instid1(VALU_DEP_1)
	v_lshlrev_b64 v[10:11], 3, v[11:12]
	v_add_co_u32 v10, vcc_lo, s10, v10
	s_delay_alu instid0(VALU_DEP_2)
	v_add_co_ci_u32_e32 v11, vcc_lo, s11, v11, vcc_lo
	s_clause 0x1
	global_load_b64 v[20:21], v[20:21], off
	global_load_b64 v[10:11], v[10:11], off
	s_waitcnt vmcnt(0)
	v_fmac_f32_e32 v15, v20, v10
	v_fmac_f32_e32 v16, v21, v10
	s_delay_alu instid0(VALU_DEP_2) | instskip(NEXT) | instid1(VALU_DEP_2)
	v_fma_f32 v15, -v21, v11, v15
	v_fmac_f32_e32 v16, v20, v11
	s_branch .LBB52_6
.LBB52_9:                               ;   in Loop: Header=BB52_3 Depth=1
	s_or_b32 exec_lo, exec_lo, s28
.LBB52_10:                              ;   in Loop: Header=BB52_3 Depth=1
	s_delay_alu instid0(SALU_CYCLE_1)
	s_or_b32 exec_lo, exec_lo, s27
	s_waitcnt vmcnt(1)
	v_dual_sub_f32 v3, v3, v15 :: v_dual_sub_f32 v4, v4, v16
	s_mov_b32 s0, exec_lo
	v_cmpx_gt_i32_e64 v14, v13
	s_cbranch_execz .LBB52_12
; %bb.11:                               ;   in Loop: Header=BB52_3 Depth=1
	s_waitcnt vmcnt(0)
	v_mul_f32_e32 v7, v6, v6
	s_delay_alu instid0(VALU_DEP_1) | instskip(NEXT) | instid1(VALU_DEP_1)
	v_fmac_f32_e32 v7, v5, v5
	v_div_scale_f32 v8, null, v7, v7, 1.0
	v_div_scale_f32 v11, vcc_lo, 1.0, v7, 1.0
	s_delay_alu instid0(VALU_DEP_2) | instskip(SKIP_2) | instid1(VALU_DEP_1)
	v_rcp_f32_e32 v9, v8
	s_waitcnt_depctr 0xfff
	v_fma_f32 v10, -v8, v9, 1.0
	v_fmac_f32_e32 v9, v10, v9
	s_delay_alu instid0(VALU_DEP_1) | instskip(NEXT) | instid1(VALU_DEP_1)
	v_mul_f32_e32 v10, v11, v9
	v_fma_f32 v12, -v8, v10, v11
	s_delay_alu instid0(VALU_DEP_1) | instskip(NEXT) | instid1(VALU_DEP_1)
	v_fmac_f32_e32 v10, v12, v9
	v_fma_f32 v8, -v8, v10, v11
	s_delay_alu instid0(VALU_DEP_1) | instskip(SKIP_2) | instid1(VALU_DEP_3)
	v_div_fmas_f32 v8, v8, v9, v10
	v_mul_f32_e32 v9, v6, v4
	v_mul_f32_e64 v6, v6, -v3
	v_div_fixup_f32 v7, v8, v7, 1.0
	s_delay_alu instid0(VALU_DEP_3) | instskip(NEXT) | instid1(VALU_DEP_3)
	v_fmac_f32_e32 v9, v3, v5
	v_fmac_f32_e32 v6, v4, v5
	s_delay_alu instid0(VALU_DEP_2) | instskip(NEXT) | instid1(VALU_DEP_2)
	v_mul_f32_e32 v3, v7, v9
	v_mul_f32_e32 v4, v7, v6
.LBB52_12:                              ;   in Loop: Header=BB52_3 Depth=1
	s_or_b32 exec_lo, exec_lo, s0
	s_delay_alu instid0(VALU_DEP_2)
	v_cmp_gt_f32_e32 vcc_lo, 0, v3
                                        ; implicit-def: $vgpr7
	s_mov_b32 s0, exec_lo
	s_waitcnt vmcnt(0)
	v_cndmask_b32_e64 v5, v3, -v3, vcc_lo
	v_cmp_gt_f32_e32 vcc_lo, 0, v4
	v_cndmask_b32_e64 v6, v4, -v4, vcc_lo
	s_delay_alu instid0(VALU_DEP_1)
	v_cmpx_ngt_f32_e32 v5, v6
	s_xor_b32 s27, exec_lo, s0
	s_cbranch_execnz .LBB52_15
; %bb.13:                               ;   in Loop: Header=BB52_3 Depth=1
	s_and_not1_saveexec_b32 s27, s27
	s_cbranch_execnz .LBB52_18
.LBB52_14:                              ;   in Loop: Header=BB52_3 Depth=1
	s_or_b32 exec_lo, exec_lo, s27
	v_cmp_class_f32_e64 s0, v7, 0x1f8
	s_delay_alu instid0(VALU_DEP_1)
	s_and_b32 exec_lo, exec_lo, s0
	s_cbranch_execz .LBB52_2
	s_branch .LBB52_19
.LBB52_15:                              ;   in Loop: Header=BB52_3 Depth=1
	v_mov_b32_e32 v7, 0
	s_mov_b32 s28, exec_lo
	v_cmpx_neq_f32_e32 0, v4
	s_cbranch_execz .LBB52_17
; %bb.16:                               ;   in Loop: Header=BB52_3 Depth=1
	v_div_scale_f32 v7, null, v6, v6, v5
	v_div_scale_f32 v10, vcc_lo, v5, v6, v5
	s_delay_alu instid0(VALU_DEP_2) | instskip(SKIP_2) | instid1(VALU_DEP_1)
	v_rcp_f32_e32 v8, v7
	s_waitcnt_depctr 0xfff
	v_fma_f32 v9, -v7, v8, 1.0
	v_fmac_f32_e32 v8, v9, v8
	s_delay_alu instid0(VALU_DEP_1) | instskip(NEXT) | instid1(VALU_DEP_1)
	v_mul_f32_e32 v9, v10, v8
	v_fma_f32 v11, -v7, v9, v10
	s_delay_alu instid0(VALU_DEP_1) | instskip(NEXT) | instid1(VALU_DEP_1)
	v_fmac_f32_e32 v9, v11, v8
	v_fma_f32 v7, -v7, v9, v10
	s_delay_alu instid0(VALU_DEP_1) | instskip(NEXT) | instid1(VALU_DEP_1)
	v_div_fmas_f32 v7, v7, v8, v9
	v_div_fixup_f32 v5, v7, v6, v5
	s_delay_alu instid0(VALU_DEP_1) | instskip(NEXT) | instid1(VALU_DEP_1)
	v_fma_f32 v5, v5, v5, 1.0
	v_mul_f32_e32 v7, 0x4f800000, v5
	v_cmp_gt_f32_e32 vcc_lo, 0xf800000, v5
	s_delay_alu instid0(VALU_DEP_2) | instskip(NEXT) | instid1(VALU_DEP_1)
	v_cndmask_b32_e32 v5, v5, v7, vcc_lo
	v_sqrt_f32_e32 v7, v5
	s_waitcnt_depctr 0xfff
	v_add_nc_u32_e32 v8, -1, v7
	v_add_nc_u32_e32 v9, 1, v7
	s_delay_alu instid0(VALU_DEP_2) | instskip(NEXT) | instid1(VALU_DEP_2)
	v_fma_f32 v10, -v8, v7, v5
	v_fma_f32 v11, -v9, v7, v5
	s_delay_alu instid0(VALU_DEP_2) | instskip(NEXT) | instid1(VALU_DEP_1)
	v_cmp_ge_f32_e64 s0, 0, v10
	v_cndmask_b32_e64 v7, v7, v8, s0
	s_delay_alu instid0(VALU_DEP_3) | instskip(NEXT) | instid1(VALU_DEP_1)
	v_cmp_lt_f32_e64 s0, 0, v11
	v_cndmask_b32_e64 v7, v7, v9, s0
	s_delay_alu instid0(VALU_DEP_1) | instskip(NEXT) | instid1(VALU_DEP_1)
	v_mul_f32_e32 v8, 0x37800000, v7
	v_cndmask_b32_e32 v7, v7, v8, vcc_lo
	v_cmp_class_f32_e64 vcc_lo, v5, 0x260
	s_delay_alu instid0(VALU_DEP_2) | instskip(NEXT) | instid1(VALU_DEP_1)
	v_cndmask_b32_e32 v5, v7, v5, vcc_lo
	v_mul_f32_e32 v7, v6, v5
.LBB52_17:                              ;   in Loop: Header=BB52_3 Depth=1
	s_or_b32 exec_lo, exec_lo, s28
                                        ; implicit-def: $vgpr5
                                        ; implicit-def: $vgpr6
	s_and_not1_saveexec_b32 s27, s27
	s_cbranch_execz .LBB52_14
.LBB52_18:                              ;   in Loop: Header=BB52_3 Depth=1
	v_div_scale_f32 v7, null, v5, v5, v6
	v_div_scale_f32 v10, vcc_lo, v6, v5, v6
	s_delay_alu instid0(VALU_DEP_2) | instskip(SKIP_2) | instid1(VALU_DEP_1)
	v_rcp_f32_e32 v8, v7
	s_waitcnt_depctr 0xfff
	v_fma_f32 v9, -v7, v8, 1.0
	v_fmac_f32_e32 v8, v9, v8
	s_delay_alu instid0(VALU_DEP_1) | instskip(NEXT) | instid1(VALU_DEP_1)
	v_mul_f32_e32 v9, v10, v8
	v_fma_f32 v11, -v7, v9, v10
	s_delay_alu instid0(VALU_DEP_1) | instskip(NEXT) | instid1(VALU_DEP_1)
	v_fmac_f32_e32 v9, v11, v8
	v_fma_f32 v7, -v7, v9, v10
	s_delay_alu instid0(VALU_DEP_1) | instskip(NEXT) | instid1(VALU_DEP_1)
	v_div_fmas_f32 v7, v7, v8, v9
	v_div_fixup_f32 v6, v7, v5, v6
	s_delay_alu instid0(VALU_DEP_1) | instskip(NEXT) | instid1(VALU_DEP_1)
	v_fma_f32 v6, v6, v6, 1.0
	v_mul_f32_e32 v7, 0x4f800000, v6
	v_cmp_gt_f32_e32 vcc_lo, 0xf800000, v6
	s_delay_alu instid0(VALU_DEP_2) | instskip(NEXT) | instid1(VALU_DEP_1)
	v_cndmask_b32_e32 v6, v6, v7, vcc_lo
	v_sqrt_f32_e32 v7, v6
	s_waitcnt_depctr 0xfff
	v_add_nc_u32_e32 v8, -1, v7
	v_add_nc_u32_e32 v9, 1, v7
	s_delay_alu instid0(VALU_DEP_2) | instskip(NEXT) | instid1(VALU_DEP_2)
	v_fma_f32 v10, -v8, v7, v6
	v_fma_f32 v11, -v9, v7, v6
	s_delay_alu instid0(VALU_DEP_2) | instskip(NEXT) | instid1(VALU_DEP_1)
	v_cmp_ge_f32_e64 s0, 0, v10
	v_cndmask_b32_e64 v7, v7, v8, s0
	s_delay_alu instid0(VALU_DEP_3) | instskip(NEXT) | instid1(VALU_DEP_1)
	v_cmp_lt_f32_e64 s0, 0, v11
	v_cndmask_b32_e64 v7, v7, v9, s0
	s_delay_alu instid0(VALU_DEP_1) | instskip(NEXT) | instid1(VALU_DEP_1)
	v_mul_f32_e32 v8, 0x37800000, v7
	v_cndmask_b32_e32 v7, v7, v8, vcc_lo
	v_cmp_class_f32_e64 vcc_lo, v6, 0x260
	s_delay_alu instid0(VALU_DEP_2) | instskip(NEXT) | instid1(VALU_DEP_1)
	v_cndmask_b32_e32 v6, v7, v6, vcc_lo
	v_mul_f32_e32 v7, v5, v6
	s_or_b32 exec_lo, exec_lo, s27
	s_delay_alu instid0(VALU_DEP_1) | instskip(NEXT) | instid1(VALU_DEP_1)
	v_cmp_class_f32_e64 s0, v7, 0x1f8
	s_and_b32 exec_lo, exec_lo, s0
	s_cbranch_execz .LBB52_2
.LBB52_19:                              ;   in Loop: Header=BB52_3 Depth=1
	v_add_co_u32 v1, vcc_lo, s10, v1
	v_add_co_ci_u32_e32 v2, vcc_lo, s11, v2, vcc_lo
	global_store_b64 v[1:2], v[3:4], off
	s_branch .LBB52_2
.LBB52_20:
	s_nop 0
	s_sendmsg sendmsg(MSG_DEALLOC_VGPRS)
	s_endpgm
	.section	.rodata,"a",@progbits
	.p2align	6, 0x0
	.amdhsa_kernel _ZN9rocsparseL20kernel_calculate_cooILi1024ELi32ELb0E21rocsparse_complex_numIfEiiEEvT4_T3_PKS3_S6_PKT2_21rocsparse_index_base_PKS4_SC_S6_SC_SC_S6_SC_PS7_PNS_15floating_traitsIS7_E6data_tEPKSG_
		.amdhsa_group_segment_fixed_size 0
		.amdhsa_private_segment_fixed_size 0
		.amdhsa_kernarg_size 120
		.amdhsa_user_sgpr_count 15
		.amdhsa_user_sgpr_dispatch_ptr 0
		.amdhsa_user_sgpr_queue_ptr 0
		.amdhsa_user_sgpr_kernarg_segment_ptr 1
		.amdhsa_user_sgpr_dispatch_id 0
		.amdhsa_user_sgpr_private_segment_size 0
		.amdhsa_wavefront_size32 1
		.amdhsa_uses_dynamic_stack 0
		.amdhsa_enable_private_segment 0
		.amdhsa_system_sgpr_workgroup_id_x 1
		.amdhsa_system_sgpr_workgroup_id_y 0
		.amdhsa_system_sgpr_workgroup_id_z 0
		.amdhsa_system_sgpr_workgroup_info 0
		.amdhsa_system_vgpr_workitem_id 0
		.amdhsa_next_free_vgpr 23
		.amdhsa_next_free_sgpr 29
		.amdhsa_reserve_vcc 1
		.amdhsa_float_round_mode_32 0
		.amdhsa_float_round_mode_16_64 0
		.amdhsa_float_denorm_mode_32 3
		.amdhsa_float_denorm_mode_16_64 3
		.amdhsa_dx10_clamp 1
		.amdhsa_ieee_mode 1
		.amdhsa_fp16_overflow 0
		.amdhsa_workgroup_processor_mode 1
		.amdhsa_memory_ordered 1
		.amdhsa_forward_progress 0
		.amdhsa_shared_vgpr_count 0
		.amdhsa_exception_fp_ieee_invalid_op 0
		.amdhsa_exception_fp_denorm_src 0
		.amdhsa_exception_fp_ieee_div_zero 0
		.amdhsa_exception_fp_ieee_overflow 0
		.amdhsa_exception_fp_ieee_underflow 0
		.amdhsa_exception_fp_ieee_inexact 0
		.amdhsa_exception_int_div_zero 0
	.end_amdhsa_kernel
	.section	.text._ZN9rocsparseL20kernel_calculate_cooILi1024ELi32ELb0E21rocsparse_complex_numIfEiiEEvT4_T3_PKS3_S6_PKT2_21rocsparse_index_base_PKS4_SC_S6_SC_SC_S6_SC_PS7_PNS_15floating_traitsIS7_E6data_tEPKSG_,"axG",@progbits,_ZN9rocsparseL20kernel_calculate_cooILi1024ELi32ELb0E21rocsparse_complex_numIfEiiEEvT4_T3_PKS3_S6_PKT2_21rocsparse_index_base_PKS4_SC_S6_SC_SC_S6_SC_PS7_PNS_15floating_traitsIS7_E6data_tEPKSG_,comdat
.Lfunc_end52:
	.size	_ZN9rocsparseL20kernel_calculate_cooILi1024ELi32ELb0E21rocsparse_complex_numIfEiiEEvT4_T3_PKS3_S6_PKT2_21rocsparse_index_base_PKS4_SC_S6_SC_SC_S6_SC_PS7_PNS_15floating_traitsIS7_E6data_tEPKSG_, .Lfunc_end52-_ZN9rocsparseL20kernel_calculate_cooILi1024ELi32ELb0E21rocsparse_complex_numIfEiiEEvT4_T3_PKS3_S6_PKT2_21rocsparse_index_base_PKS4_SC_S6_SC_SC_S6_SC_PS7_PNS_15floating_traitsIS7_E6data_tEPKSG_
                                        ; -- End function
	.section	.AMDGPU.csdata,"",@progbits
; Kernel info:
; codeLenInByte = 1656
; NumSgprs: 31
; NumVgprs: 23
; ScratchSize: 0
; MemoryBound: 0
; FloatMode: 240
; IeeeMode: 1
; LDSByteSize: 0 bytes/workgroup (compile time only)
; SGPRBlocks: 3
; VGPRBlocks: 2
; NumSGPRsForWavesPerEU: 31
; NumVGPRsForWavesPerEU: 23
; Occupancy: 16
; WaveLimiterHint : 1
; COMPUTE_PGM_RSRC2:SCRATCH_EN: 0
; COMPUTE_PGM_RSRC2:USER_SGPR: 15
; COMPUTE_PGM_RSRC2:TRAP_HANDLER: 0
; COMPUTE_PGM_RSRC2:TGID_X_EN: 1
; COMPUTE_PGM_RSRC2:TGID_Y_EN: 0
; COMPUTE_PGM_RSRC2:TGID_Z_EN: 0
; COMPUTE_PGM_RSRC2:TIDIG_COMP_CNT: 0
	.section	.text._ZN9rocsparseL20kernel_calculate_cooILi1024ELi64ELb0E21rocsparse_complex_numIfEiiEEvT4_T3_PKS3_S6_PKT2_21rocsparse_index_base_PKS4_SC_S6_SC_SC_S6_SC_PS7_PNS_15floating_traitsIS7_E6data_tEPKSG_,"axG",@progbits,_ZN9rocsparseL20kernel_calculate_cooILi1024ELi64ELb0E21rocsparse_complex_numIfEiiEEvT4_T3_PKS3_S6_PKT2_21rocsparse_index_base_PKS4_SC_S6_SC_SC_S6_SC_PS7_PNS_15floating_traitsIS7_E6data_tEPKSG_,comdat
	.globl	_ZN9rocsparseL20kernel_calculate_cooILi1024ELi64ELb0E21rocsparse_complex_numIfEiiEEvT4_T3_PKS3_S6_PKT2_21rocsparse_index_base_PKS4_SC_S6_SC_SC_S6_SC_PS7_PNS_15floating_traitsIS7_E6data_tEPKSG_ ; -- Begin function _ZN9rocsparseL20kernel_calculate_cooILi1024ELi64ELb0E21rocsparse_complex_numIfEiiEEvT4_T3_PKS3_S6_PKT2_21rocsparse_index_base_PKS4_SC_S6_SC_SC_S6_SC_PS7_PNS_15floating_traitsIS7_E6data_tEPKSG_
	.p2align	8
	.type	_ZN9rocsparseL20kernel_calculate_cooILi1024ELi64ELb0E21rocsparse_complex_numIfEiiEEvT4_T3_PKS3_S6_PKT2_21rocsparse_index_base_PKS4_SC_S6_SC_SC_S6_SC_PS7_PNS_15floating_traitsIS7_E6data_tEPKSG_,@function
_ZN9rocsparseL20kernel_calculate_cooILi1024ELi64ELb0E21rocsparse_complex_numIfEiiEEvT4_T3_PKS3_S6_PKT2_21rocsparse_index_base_PKS4_SC_S6_SC_SC_S6_SC_PS7_PNS_15floating_traitsIS7_E6data_tEPKSG_: ; @_ZN9rocsparseL20kernel_calculate_cooILi1024ELi64ELb0E21rocsparse_complex_numIfEiiEEvT4_T3_PKS3_S6_PKT2_21rocsparse_index_base_PKS4_SC_S6_SC_SC_S6_SC_PS7_PNS_15floating_traitsIS7_E6data_tEPKSG_
; %bb.0:
	s_load_b32 s24, s[0:1], 0x4
	v_lshl_or_b32 v0, s15, 16, v0
	s_mov_b32 s2, exec_lo
	s_waitcnt lgkmcnt(0)
	s_delay_alu instid0(VALU_DEP_1)
	v_cmpx_gt_i32_e64 s24, v0
	s_cbranch_execz .LBB53_20
; %bb.1:
	s_clause 0x4
	s_load_b256 s[4:11], s[0:1], 0x48
	s_load_b128 s[20:23], s[0:1], 0x8
	s_load_b64 s[2:3], s[0:1], 0x18
	s_load_b256 s[12:19], s[0:1], 0x28
	s_load_b32 s1, s[0:1], 0x20
	s_mov_b32 s25, 0
	s_branch .LBB53_3
.LBB53_2:                               ;   in Loop: Header=BB53_3 Depth=1
	s_or_b32 exec_lo, exec_lo, s26
	v_add_nc_u32_e32 v0, 0x400, v0
	s_add_i32 s25, s25, 1
	s_delay_alu instid0(SALU_CYCLE_1)
	s_cmp_lg_u32 s25, 64
	s_cbranch_scc0 .LBB53_20
.LBB53_3:                               ; =>This Loop Header: Depth=1
                                        ;     Child Loop BB53_7 Depth 2
	s_mov_b32 s26, exec_lo
	v_cmpx_gt_i32_e64 s24, v0
	s_cbranch_execz .LBB53_2
; %bb.4:                                ;   in Loop: Header=BB53_3 Depth=1
	v_ashrrev_i32_e32 v1, 31, v0
	s_delay_alu instid0(VALU_DEP_1) | instskip(SKIP_1) | instid1(VALU_DEP_1)
	v_lshlrev_b64 v[2:3], 2, v[0:1]
	s_waitcnt lgkmcnt(0)
	v_add_co_u32 v4, vcc_lo, s22, v2
	s_delay_alu instid0(VALU_DEP_2)
	v_add_co_ci_u32_e32 v5, vcc_lo, s23, v3, vcc_lo
	v_add_co_u32 v2, vcc_lo, s20, v2
	v_add_co_ci_u32_e32 v3, vcc_lo, s21, v3, vcc_lo
	global_load_b32 v13, v[4:5], off
	global_load_b32 v14, v[2:3], off
	s_waitcnt vmcnt(1)
	v_subrev_nc_u32_e32 v2, s1, v13
	s_delay_alu instid0(VALU_DEP_1) | instskip(NEXT) | instid1(VALU_DEP_1)
	v_ashrrev_i32_e32 v3, 31, v2
	v_lshlrev_b64 v[3:4], 2, v[2:3]
	v_lshlrev_b64 v[1:2], 3, v[0:1]
	s_delay_alu instid0(VALU_DEP_2) | instskip(NEXT) | instid1(VALU_DEP_3)
	v_add_co_u32 v5, vcc_lo, s14, v3
	v_add_co_ci_u32_e32 v6, vcc_lo, s15, v4, vcc_lo
	global_load_b32 v10, v[5:6], off
	s_waitcnt vmcnt(1)
	v_subrev_nc_u32_e32 v5, s1, v14
	s_delay_alu instid0(VALU_DEP_1) | instskip(NEXT) | instid1(VALU_DEP_1)
	v_ashrrev_i32_e32 v6, 31, v5
	v_lshlrev_b64 v[5:6], 2, v[5:6]
	s_delay_alu instid0(VALU_DEP_1) | instskip(NEXT) | instid1(VALU_DEP_2)
	v_add_co_u32 v7, vcc_lo, s14, v5
	v_add_co_ci_u32_e32 v8, vcc_lo, s15, v6, vcc_lo
	global_load_b32 v7, v[7:8], off
	v_add_co_u32 v8, vcc_lo, s4, v3
	v_add_co_ci_u32_e32 v9, vcc_lo, s5, v4, vcc_lo
	v_add_co_u32 v5, vcc_lo, s12, v5
	v_add_co_ci_u32_e32 v6, vcc_lo, s13, v6, vcc_lo
	;; [unrolled: 2-line block ×4, first 2 shown]
	s_waitcnt vmcnt(1)
	v_subrev_nc_u32_e32 v10, s1, v10
	s_delay_alu instid0(VALU_DEP_1) | instskip(NEXT) | instid1(VALU_DEP_1)
	v_ashrrev_i32_e32 v11, 31, v10
	v_lshlrev_b64 v[11:12], 3, v[10:11]
	global_load_b32 v9, v[8:9], off
	global_load_b32 v8, v[5:6], off
	;; [unrolled: 1-line block ×3, first 2 shown]
	v_add_co_u32 v5, vcc_lo, s10, v11
	v_add_co_ci_u32_e32 v6, vcc_lo, s11, v12, vcc_lo
	global_load_b64 v[3:4], v[15:16], off
	global_load_b64 v[5:6], v[5:6], off
	v_dual_mov_b32 v15, 0 :: v_dual_mov_b32 v16, 0
	s_waitcnt vmcnt(3)
	v_cmp_lt_i32_e32 vcc_lo, v8, v7
	s_waitcnt vmcnt(2)
	v_cmp_lt_i32_e64 s0, v10, v9
	s_delay_alu instid0(VALU_DEP_1) | instskip(NEXT) | instid1(SALU_CYCLE_1)
	s_and_b32 s0, vcc_lo, s0
	s_and_saveexec_b32 s27, s0
	s_cbranch_execz .LBB53_10
; %bb.5:                                ;   in Loop: Header=BB53_3 Depth=1
	v_subrev_nc_u32_e32 v17, s1, v9
	v_subrev_nc_u32_e32 v18, s1, v7
	;; [unrolled: 1-line block ×4, first 2 shown]
	v_dual_mov_b32 v15, 0 :: v_dual_mov_b32 v16, 0
	s_mov_b32 s28, 0
	s_branch .LBB53_7
.LBB53_6:                               ;   in Loop: Header=BB53_7 Depth=2
	s_or_b32 exec_lo, exec_lo, s0
	v_cmp_le_i32_e32 vcc_lo, v8, v19
	v_add_co_ci_u32_e32 v9, vcc_lo, 0, v9, vcc_lo
	v_cmp_ge_i32_e32 vcc_lo, v8, v19
	v_add_co_ci_u32_e32 v7, vcc_lo, 0, v7, vcc_lo
	s_delay_alu instid0(VALU_DEP_3) | instskip(NEXT) | instid1(VALU_DEP_2)
	v_cmp_ge_i32_e32 vcc_lo, v9, v18
	v_cmp_ge_i32_e64 s0, v7, v17
	s_delay_alu instid0(VALU_DEP_1) | instskip(NEXT) | instid1(SALU_CYCLE_1)
	s_or_b32 s0, vcc_lo, s0
	s_and_b32 s0, exec_lo, s0
	s_delay_alu instid0(SALU_CYCLE_1) | instskip(NEXT) | instid1(SALU_CYCLE_1)
	s_or_b32 s28, s0, s28
	s_and_not1_b32 exec_lo, exec_lo, s28
	s_cbranch_execz .LBB53_9
.LBB53_7:                               ;   Parent Loop BB53_3 Depth=1
                                        ; =>  This Inner Loop Header: Depth=2
	s_delay_alu instid0(VALU_DEP_2) | instskip(SKIP_2) | instid1(VALU_DEP_2)
	v_ashrrev_i32_e32 v10, 31, v9
	v_ashrrev_i32_e32 v8, 31, v7
	s_mov_b32 s0, exec_lo
	v_lshlrev_b64 v[19:20], 2, v[9:10]
	s_delay_alu instid0(VALU_DEP_2) | instskip(NEXT) | instid1(VALU_DEP_2)
	v_lshlrev_b64 v[11:12], 2, v[7:8]
	v_add_co_u32 v19, vcc_lo, s16, v19
	s_delay_alu instid0(VALU_DEP_3) | instskip(NEXT) | instid1(VALU_DEP_3)
	v_add_co_ci_u32_e32 v20, vcc_lo, s17, v20, vcc_lo
	v_add_co_u32 v21, vcc_lo, s6, v11
	s_delay_alu instid0(VALU_DEP_4)
	v_add_co_ci_u32_e32 v22, vcc_lo, s7, v12, vcc_lo
	global_load_b32 v8, v[19:20], off
	global_load_b32 v19, v[21:22], off
	s_waitcnt vmcnt(0)
	v_cmpx_eq_u32_e64 v8, v19
	s_cbranch_execz .LBB53_6
; %bb.8:                                ;   in Loop: Header=BB53_7 Depth=2
	v_add_co_u32 v11, vcc_lo, s8, v11
	v_add_co_ci_u32_e32 v12, vcc_lo, s9, v12, vcc_lo
	v_lshlrev_b64 v[20:21], 3, v[9:10]
	global_load_b32 v11, v[11:12], off
	v_add_co_u32 v20, vcc_lo, s10, v20
	v_add_co_ci_u32_e32 v21, vcc_lo, s11, v21, vcc_lo
	s_waitcnt vmcnt(0)
	v_ashrrev_i32_e32 v12, 31, v11
	s_delay_alu instid0(VALU_DEP_1) | instskip(NEXT) | instid1(VALU_DEP_1)
	v_lshlrev_b64 v[10:11], 3, v[11:12]
	v_add_co_u32 v10, vcc_lo, s10, v10
	s_delay_alu instid0(VALU_DEP_2)
	v_add_co_ci_u32_e32 v11, vcc_lo, s11, v11, vcc_lo
	s_clause 0x1
	global_load_b64 v[20:21], v[20:21], off
	global_load_b64 v[10:11], v[10:11], off
	s_waitcnt vmcnt(0)
	v_fmac_f32_e32 v15, v20, v10
	v_fmac_f32_e32 v16, v21, v10
	s_delay_alu instid0(VALU_DEP_2) | instskip(NEXT) | instid1(VALU_DEP_2)
	v_fma_f32 v15, -v21, v11, v15
	v_fmac_f32_e32 v16, v20, v11
	s_branch .LBB53_6
.LBB53_9:                               ;   in Loop: Header=BB53_3 Depth=1
	s_or_b32 exec_lo, exec_lo, s28
.LBB53_10:                              ;   in Loop: Header=BB53_3 Depth=1
	s_delay_alu instid0(SALU_CYCLE_1)
	s_or_b32 exec_lo, exec_lo, s27
	s_waitcnt vmcnt(1)
	v_dual_sub_f32 v3, v3, v15 :: v_dual_sub_f32 v4, v4, v16
	s_mov_b32 s0, exec_lo
	v_cmpx_gt_i32_e64 v14, v13
	s_cbranch_execz .LBB53_12
; %bb.11:                               ;   in Loop: Header=BB53_3 Depth=1
	s_waitcnt vmcnt(0)
	v_mul_f32_e32 v7, v6, v6
	s_delay_alu instid0(VALU_DEP_1) | instskip(NEXT) | instid1(VALU_DEP_1)
	v_fmac_f32_e32 v7, v5, v5
	v_div_scale_f32 v8, null, v7, v7, 1.0
	v_div_scale_f32 v11, vcc_lo, 1.0, v7, 1.0
	s_delay_alu instid0(VALU_DEP_2) | instskip(SKIP_2) | instid1(VALU_DEP_1)
	v_rcp_f32_e32 v9, v8
	s_waitcnt_depctr 0xfff
	v_fma_f32 v10, -v8, v9, 1.0
	v_fmac_f32_e32 v9, v10, v9
	s_delay_alu instid0(VALU_DEP_1) | instskip(NEXT) | instid1(VALU_DEP_1)
	v_mul_f32_e32 v10, v11, v9
	v_fma_f32 v12, -v8, v10, v11
	s_delay_alu instid0(VALU_DEP_1) | instskip(NEXT) | instid1(VALU_DEP_1)
	v_fmac_f32_e32 v10, v12, v9
	v_fma_f32 v8, -v8, v10, v11
	s_delay_alu instid0(VALU_DEP_1) | instskip(SKIP_2) | instid1(VALU_DEP_3)
	v_div_fmas_f32 v8, v8, v9, v10
	v_mul_f32_e32 v9, v6, v4
	v_mul_f32_e64 v6, v6, -v3
	v_div_fixup_f32 v7, v8, v7, 1.0
	s_delay_alu instid0(VALU_DEP_3) | instskip(NEXT) | instid1(VALU_DEP_3)
	v_fmac_f32_e32 v9, v3, v5
	v_fmac_f32_e32 v6, v4, v5
	s_delay_alu instid0(VALU_DEP_2) | instskip(NEXT) | instid1(VALU_DEP_2)
	v_mul_f32_e32 v3, v7, v9
	v_mul_f32_e32 v4, v7, v6
.LBB53_12:                              ;   in Loop: Header=BB53_3 Depth=1
	s_or_b32 exec_lo, exec_lo, s0
	s_delay_alu instid0(VALU_DEP_2)
	v_cmp_gt_f32_e32 vcc_lo, 0, v3
                                        ; implicit-def: $vgpr7
	s_mov_b32 s0, exec_lo
	s_waitcnt vmcnt(0)
	v_cndmask_b32_e64 v5, v3, -v3, vcc_lo
	v_cmp_gt_f32_e32 vcc_lo, 0, v4
	v_cndmask_b32_e64 v6, v4, -v4, vcc_lo
	s_delay_alu instid0(VALU_DEP_1)
	v_cmpx_ngt_f32_e32 v5, v6
	s_xor_b32 s27, exec_lo, s0
	s_cbranch_execnz .LBB53_15
; %bb.13:                               ;   in Loop: Header=BB53_3 Depth=1
	s_and_not1_saveexec_b32 s27, s27
	s_cbranch_execnz .LBB53_18
.LBB53_14:                              ;   in Loop: Header=BB53_3 Depth=1
	s_or_b32 exec_lo, exec_lo, s27
	v_cmp_class_f32_e64 s0, v7, 0x1f8
	s_delay_alu instid0(VALU_DEP_1)
	s_and_b32 exec_lo, exec_lo, s0
	s_cbranch_execz .LBB53_2
	s_branch .LBB53_19
.LBB53_15:                              ;   in Loop: Header=BB53_3 Depth=1
	v_mov_b32_e32 v7, 0
	s_mov_b32 s28, exec_lo
	v_cmpx_neq_f32_e32 0, v4
	s_cbranch_execz .LBB53_17
; %bb.16:                               ;   in Loop: Header=BB53_3 Depth=1
	v_div_scale_f32 v7, null, v6, v6, v5
	v_div_scale_f32 v10, vcc_lo, v5, v6, v5
	s_delay_alu instid0(VALU_DEP_2) | instskip(SKIP_2) | instid1(VALU_DEP_1)
	v_rcp_f32_e32 v8, v7
	s_waitcnt_depctr 0xfff
	v_fma_f32 v9, -v7, v8, 1.0
	v_fmac_f32_e32 v8, v9, v8
	s_delay_alu instid0(VALU_DEP_1) | instskip(NEXT) | instid1(VALU_DEP_1)
	v_mul_f32_e32 v9, v10, v8
	v_fma_f32 v11, -v7, v9, v10
	s_delay_alu instid0(VALU_DEP_1) | instskip(NEXT) | instid1(VALU_DEP_1)
	v_fmac_f32_e32 v9, v11, v8
	v_fma_f32 v7, -v7, v9, v10
	s_delay_alu instid0(VALU_DEP_1) | instskip(NEXT) | instid1(VALU_DEP_1)
	v_div_fmas_f32 v7, v7, v8, v9
	v_div_fixup_f32 v5, v7, v6, v5
	s_delay_alu instid0(VALU_DEP_1) | instskip(NEXT) | instid1(VALU_DEP_1)
	v_fma_f32 v5, v5, v5, 1.0
	v_mul_f32_e32 v7, 0x4f800000, v5
	v_cmp_gt_f32_e32 vcc_lo, 0xf800000, v5
	s_delay_alu instid0(VALU_DEP_2) | instskip(NEXT) | instid1(VALU_DEP_1)
	v_cndmask_b32_e32 v5, v5, v7, vcc_lo
	v_sqrt_f32_e32 v7, v5
	s_waitcnt_depctr 0xfff
	v_add_nc_u32_e32 v8, -1, v7
	v_add_nc_u32_e32 v9, 1, v7
	s_delay_alu instid0(VALU_DEP_2) | instskip(NEXT) | instid1(VALU_DEP_2)
	v_fma_f32 v10, -v8, v7, v5
	v_fma_f32 v11, -v9, v7, v5
	s_delay_alu instid0(VALU_DEP_2) | instskip(NEXT) | instid1(VALU_DEP_1)
	v_cmp_ge_f32_e64 s0, 0, v10
	v_cndmask_b32_e64 v7, v7, v8, s0
	s_delay_alu instid0(VALU_DEP_3) | instskip(NEXT) | instid1(VALU_DEP_1)
	v_cmp_lt_f32_e64 s0, 0, v11
	v_cndmask_b32_e64 v7, v7, v9, s0
	s_delay_alu instid0(VALU_DEP_1) | instskip(NEXT) | instid1(VALU_DEP_1)
	v_mul_f32_e32 v8, 0x37800000, v7
	v_cndmask_b32_e32 v7, v7, v8, vcc_lo
	v_cmp_class_f32_e64 vcc_lo, v5, 0x260
	s_delay_alu instid0(VALU_DEP_2) | instskip(NEXT) | instid1(VALU_DEP_1)
	v_cndmask_b32_e32 v5, v7, v5, vcc_lo
	v_mul_f32_e32 v7, v6, v5
.LBB53_17:                              ;   in Loop: Header=BB53_3 Depth=1
	s_or_b32 exec_lo, exec_lo, s28
                                        ; implicit-def: $vgpr5
                                        ; implicit-def: $vgpr6
	s_and_not1_saveexec_b32 s27, s27
	s_cbranch_execz .LBB53_14
.LBB53_18:                              ;   in Loop: Header=BB53_3 Depth=1
	v_div_scale_f32 v7, null, v5, v5, v6
	v_div_scale_f32 v10, vcc_lo, v6, v5, v6
	s_delay_alu instid0(VALU_DEP_2) | instskip(SKIP_2) | instid1(VALU_DEP_1)
	v_rcp_f32_e32 v8, v7
	s_waitcnt_depctr 0xfff
	v_fma_f32 v9, -v7, v8, 1.0
	v_fmac_f32_e32 v8, v9, v8
	s_delay_alu instid0(VALU_DEP_1) | instskip(NEXT) | instid1(VALU_DEP_1)
	v_mul_f32_e32 v9, v10, v8
	v_fma_f32 v11, -v7, v9, v10
	s_delay_alu instid0(VALU_DEP_1) | instskip(NEXT) | instid1(VALU_DEP_1)
	v_fmac_f32_e32 v9, v11, v8
	v_fma_f32 v7, -v7, v9, v10
	s_delay_alu instid0(VALU_DEP_1) | instskip(NEXT) | instid1(VALU_DEP_1)
	v_div_fmas_f32 v7, v7, v8, v9
	v_div_fixup_f32 v6, v7, v5, v6
	s_delay_alu instid0(VALU_DEP_1) | instskip(NEXT) | instid1(VALU_DEP_1)
	v_fma_f32 v6, v6, v6, 1.0
	v_mul_f32_e32 v7, 0x4f800000, v6
	v_cmp_gt_f32_e32 vcc_lo, 0xf800000, v6
	s_delay_alu instid0(VALU_DEP_2) | instskip(NEXT) | instid1(VALU_DEP_1)
	v_cndmask_b32_e32 v6, v6, v7, vcc_lo
	v_sqrt_f32_e32 v7, v6
	s_waitcnt_depctr 0xfff
	v_add_nc_u32_e32 v8, -1, v7
	v_add_nc_u32_e32 v9, 1, v7
	s_delay_alu instid0(VALU_DEP_2) | instskip(NEXT) | instid1(VALU_DEP_2)
	v_fma_f32 v10, -v8, v7, v6
	v_fma_f32 v11, -v9, v7, v6
	s_delay_alu instid0(VALU_DEP_2) | instskip(NEXT) | instid1(VALU_DEP_1)
	v_cmp_ge_f32_e64 s0, 0, v10
	v_cndmask_b32_e64 v7, v7, v8, s0
	s_delay_alu instid0(VALU_DEP_3) | instskip(NEXT) | instid1(VALU_DEP_1)
	v_cmp_lt_f32_e64 s0, 0, v11
	v_cndmask_b32_e64 v7, v7, v9, s0
	s_delay_alu instid0(VALU_DEP_1) | instskip(NEXT) | instid1(VALU_DEP_1)
	v_mul_f32_e32 v8, 0x37800000, v7
	v_cndmask_b32_e32 v7, v7, v8, vcc_lo
	v_cmp_class_f32_e64 vcc_lo, v6, 0x260
	s_delay_alu instid0(VALU_DEP_2) | instskip(NEXT) | instid1(VALU_DEP_1)
	v_cndmask_b32_e32 v6, v7, v6, vcc_lo
	v_mul_f32_e32 v7, v5, v6
	s_or_b32 exec_lo, exec_lo, s27
	s_delay_alu instid0(VALU_DEP_1) | instskip(NEXT) | instid1(VALU_DEP_1)
	v_cmp_class_f32_e64 s0, v7, 0x1f8
	s_and_b32 exec_lo, exec_lo, s0
	s_cbranch_execz .LBB53_2
.LBB53_19:                              ;   in Loop: Header=BB53_3 Depth=1
	v_add_co_u32 v1, vcc_lo, s10, v1
	v_add_co_ci_u32_e32 v2, vcc_lo, s11, v2, vcc_lo
	global_store_b64 v[1:2], v[3:4], off
	s_branch .LBB53_2
.LBB53_20:
	s_nop 0
	s_sendmsg sendmsg(MSG_DEALLOC_VGPRS)
	s_endpgm
	.section	.rodata,"a",@progbits
	.p2align	6, 0x0
	.amdhsa_kernel _ZN9rocsparseL20kernel_calculate_cooILi1024ELi64ELb0E21rocsparse_complex_numIfEiiEEvT4_T3_PKS3_S6_PKT2_21rocsparse_index_base_PKS4_SC_S6_SC_SC_S6_SC_PS7_PNS_15floating_traitsIS7_E6data_tEPKSG_
		.amdhsa_group_segment_fixed_size 0
		.amdhsa_private_segment_fixed_size 0
		.amdhsa_kernarg_size 120
		.amdhsa_user_sgpr_count 15
		.amdhsa_user_sgpr_dispatch_ptr 0
		.amdhsa_user_sgpr_queue_ptr 0
		.amdhsa_user_sgpr_kernarg_segment_ptr 1
		.amdhsa_user_sgpr_dispatch_id 0
		.amdhsa_user_sgpr_private_segment_size 0
		.amdhsa_wavefront_size32 1
		.amdhsa_uses_dynamic_stack 0
		.amdhsa_enable_private_segment 0
		.amdhsa_system_sgpr_workgroup_id_x 1
		.amdhsa_system_sgpr_workgroup_id_y 0
		.amdhsa_system_sgpr_workgroup_id_z 0
		.amdhsa_system_sgpr_workgroup_info 0
		.amdhsa_system_vgpr_workitem_id 0
		.amdhsa_next_free_vgpr 23
		.amdhsa_next_free_sgpr 29
		.amdhsa_reserve_vcc 1
		.amdhsa_float_round_mode_32 0
		.amdhsa_float_round_mode_16_64 0
		.amdhsa_float_denorm_mode_32 3
		.amdhsa_float_denorm_mode_16_64 3
		.amdhsa_dx10_clamp 1
		.amdhsa_ieee_mode 1
		.amdhsa_fp16_overflow 0
		.amdhsa_workgroup_processor_mode 1
		.amdhsa_memory_ordered 1
		.amdhsa_forward_progress 0
		.amdhsa_shared_vgpr_count 0
		.amdhsa_exception_fp_ieee_invalid_op 0
		.amdhsa_exception_fp_denorm_src 0
		.amdhsa_exception_fp_ieee_div_zero 0
		.amdhsa_exception_fp_ieee_overflow 0
		.amdhsa_exception_fp_ieee_underflow 0
		.amdhsa_exception_fp_ieee_inexact 0
		.amdhsa_exception_int_div_zero 0
	.end_amdhsa_kernel
	.section	.text._ZN9rocsparseL20kernel_calculate_cooILi1024ELi64ELb0E21rocsparse_complex_numIfEiiEEvT4_T3_PKS3_S6_PKT2_21rocsparse_index_base_PKS4_SC_S6_SC_SC_S6_SC_PS7_PNS_15floating_traitsIS7_E6data_tEPKSG_,"axG",@progbits,_ZN9rocsparseL20kernel_calculate_cooILi1024ELi64ELb0E21rocsparse_complex_numIfEiiEEvT4_T3_PKS3_S6_PKT2_21rocsparse_index_base_PKS4_SC_S6_SC_SC_S6_SC_PS7_PNS_15floating_traitsIS7_E6data_tEPKSG_,comdat
.Lfunc_end53:
	.size	_ZN9rocsparseL20kernel_calculate_cooILi1024ELi64ELb0E21rocsparse_complex_numIfEiiEEvT4_T3_PKS3_S6_PKT2_21rocsparse_index_base_PKS4_SC_S6_SC_SC_S6_SC_PS7_PNS_15floating_traitsIS7_E6data_tEPKSG_, .Lfunc_end53-_ZN9rocsparseL20kernel_calculate_cooILi1024ELi64ELb0E21rocsparse_complex_numIfEiiEEvT4_T3_PKS3_S6_PKT2_21rocsparse_index_base_PKS4_SC_S6_SC_SC_S6_SC_PS7_PNS_15floating_traitsIS7_E6data_tEPKSG_
                                        ; -- End function
	.section	.AMDGPU.csdata,"",@progbits
; Kernel info:
; codeLenInByte = 1656
; NumSgprs: 31
; NumVgprs: 23
; ScratchSize: 0
; MemoryBound: 0
; FloatMode: 240
; IeeeMode: 1
; LDSByteSize: 0 bytes/workgroup (compile time only)
; SGPRBlocks: 3
; VGPRBlocks: 2
; NumSGPRsForWavesPerEU: 31
; NumVGPRsForWavesPerEU: 23
; Occupancy: 16
; WaveLimiterHint : 1
; COMPUTE_PGM_RSRC2:SCRATCH_EN: 0
; COMPUTE_PGM_RSRC2:USER_SGPR: 15
; COMPUTE_PGM_RSRC2:TRAP_HANDLER: 0
; COMPUTE_PGM_RSRC2:TGID_X_EN: 1
; COMPUTE_PGM_RSRC2:TGID_Y_EN: 0
; COMPUTE_PGM_RSRC2:TGID_Z_EN: 0
; COMPUTE_PGM_RSRC2:TIDIG_COMP_CNT: 0
	.section	.text._ZN9rocsparseL20kernel_calculate_cooILi1024ELi32ELb1E21rocsparse_complex_numIdEiiEEvT4_T3_PKS3_S6_PKT2_21rocsparse_index_base_PKS4_SC_S6_SC_SC_S6_SC_PS7_PNS_15floating_traitsIS7_E6data_tEPKSG_,"axG",@progbits,_ZN9rocsparseL20kernel_calculate_cooILi1024ELi32ELb1E21rocsparse_complex_numIdEiiEEvT4_T3_PKS3_S6_PKT2_21rocsparse_index_base_PKS4_SC_S6_SC_SC_S6_SC_PS7_PNS_15floating_traitsIS7_E6data_tEPKSG_,comdat
	.globl	_ZN9rocsparseL20kernel_calculate_cooILi1024ELi32ELb1E21rocsparse_complex_numIdEiiEEvT4_T3_PKS3_S6_PKT2_21rocsparse_index_base_PKS4_SC_S6_SC_SC_S6_SC_PS7_PNS_15floating_traitsIS7_E6data_tEPKSG_ ; -- Begin function _ZN9rocsparseL20kernel_calculate_cooILi1024ELi32ELb1E21rocsparse_complex_numIdEiiEEvT4_T3_PKS3_S6_PKT2_21rocsparse_index_base_PKS4_SC_S6_SC_SC_S6_SC_PS7_PNS_15floating_traitsIS7_E6data_tEPKSG_
	.p2align	8
	.type	_ZN9rocsparseL20kernel_calculate_cooILi1024ELi32ELb1E21rocsparse_complex_numIdEiiEEvT4_T3_PKS3_S6_PKT2_21rocsparse_index_base_PKS4_SC_S6_SC_SC_S6_SC_PS7_PNS_15floating_traitsIS7_E6data_tEPKSG_,@function
_ZN9rocsparseL20kernel_calculate_cooILi1024ELi32ELb1E21rocsparse_complex_numIdEiiEEvT4_T3_PKS3_S6_PKT2_21rocsparse_index_base_PKS4_SC_S6_SC_SC_S6_SC_PS7_PNS_15floating_traitsIS7_E6data_tEPKSG_: ; @_ZN9rocsparseL20kernel_calculate_cooILi1024ELi32ELb1E21rocsparse_complex_numIdEiiEEvT4_T3_PKS3_S6_PKT2_21rocsparse_index_base_PKS4_SC_S6_SC_SC_S6_SC_PS7_PNS_15floating_traitsIS7_E6data_tEPKSG_
; %bb.0:
	s_load_b32 s3, s[0:1], 0x4
	v_mov_b32_e32 v13, 0
	v_lshl_or_b32 v15, s15, 16, v0
	v_mov_b32_e32 v14, 0
	s_mov_b32 s26, exec_lo
	s_waitcnt lgkmcnt(0)
	s_delay_alu instid0(VALU_DEP_2)
	v_cmpx_gt_i32_e64 s3, v15
	s_cbranch_execz .LBB54_45
; %bb.1:
	s_clause 0x4
	s_load_b256 s[4:11], s[0:1], 0x48
	s_load_b128 s[20:23], s[0:1], 0x8
	s_load_b64 s[24:25], s[0:1], 0x18
	s_load_b256 s[12:19], s[0:1], 0x28
	s_load_b32 s27, s[0:1], 0x20
	v_mov_b32_e32 v13, 0
	v_mov_b32_e32 v14, 0
	s_mov_b32 s28, 0
	s_branch .LBB54_4
.LBB54_2:                               ;   in Loop: Header=BB54_4 Depth=1
	s_or_b32 exec_lo, exec_lo, s31
	s_delay_alu instid0(VALU_DEP_3)
	s_or_b32 vcc_lo, s30, vcc_lo
	v_dual_cndmask_b32 v14, v6, v14 :: v_dual_cndmask_b32 v13, v5, v13
.LBB54_3:                               ;   in Loop: Header=BB54_4 Depth=1
	s_or_b32 exec_lo, exec_lo, s29
	v_add_nc_u32_e32 v15, 0x400, v15
	s_add_i32 s28, s28, 1
	s_delay_alu instid0(SALU_CYCLE_1)
	s_cmp_lg_u32 s28, 64
	s_cbranch_scc0 .LBB54_45
.LBB54_4:                               ; =>This Loop Header: Depth=1
                                        ;     Child Loop BB54_8 Depth 2
                                        ;     Child Loop BB54_33 Depth 2
	;; [unrolled: 1-line block ×3, first 2 shown]
	s_mov_b32 s29, exec_lo
	v_cmpx_gt_i32_e64 s3, v15
	s_cbranch_execz .LBB54_3
; %bb.5:                                ;   in Loop: Header=BB54_4 Depth=1
	v_ashrrev_i32_e32 v16, 31, v15
	v_mov_b32_e32 v20, 0
	v_mov_b32_e32 v21, 0
	s_delay_alu instid0(VALU_DEP_3) | instskip(SKIP_1) | instid1(VALU_DEP_3)
	v_lshlrev_b64 v[1:2], 2, v[15:16]
	v_lshlrev_b64 v[16:17], 4, v[15:16]
	v_dual_mov_b32 v25, v21 :: v_dual_mov_b32 v24, v20
	s_waitcnt lgkmcnt(0)
	s_delay_alu instid0(VALU_DEP_3) | instskip(NEXT) | instid1(VALU_DEP_4)
	v_add_co_u32 v3, vcc_lo, s22, v1
	v_add_co_ci_u32_e32 v4, vcc_lo, s23, v2, vcc_lo
	v_add_co_u32 v1, vcc_lo, s20, v1
	v_add_co_ci_u32_e32 v2, vcc_lo, s21, v2, vcc_lo
	global_load_b32 v26, v[3:4], off
	global_load_b32 v27, v[1:2], off
	s_waitcnt vmcnt(1)
	v_subrev_nc_u32_e32 v1, s27, v26
	s_delay_alu instid0(VALU_DEP_1) | instskip(NEXT) | instid1(VALU_DEP_1)
	v_ashrrev_i32_e32 v2, 31, v1
	v_lshlrev_b64 v[1:2], 2, v[1:2]
	s_delay_alu instid0(VALU_DEP_1) | instskip(NEXT) | instid1(VALU_DEP_2)
	v_add_co_u32 v3, vcc_lo, s14, v1
	v_add_co_ci_u32_e32 v4, vcc_lo, s15, v2, vcc_lo
	global_load_b32 v7, v[3:4], off
	s_waitcnt vmcnt(1)
	v_subrev_nc_u32_e32 v3, s27, v27
	s_delay_alu instid0(VALU_DEP_1) | instskip(NEXT) | instid1(VALU_DEP_1)
	v_ashrrev_i32_e32 v4, 31, v3
	v_lshlrev_b64 v[3:4], 2, v[3:4]
	s_delay_alu instid0(VALU_DEP_1) | instskip(NEXT) | instid1(VALU_DEP_2)
	v_add_co_u32 v5, vcc_lo, s14, v3
	v_add_co_ci_u32_e32 v6, vcc_lo, s15, v4, vcc_lo
	global_load_b32 v19, v[5:6], off
	v_add_co_u32 v5, vcc_lo, s4, v1
	v_add_co_ci_u32_e32 v6, vcc_lo, s5, v2, vcc_lo
	v_add_co_u32 v3, vcc_lo, s12, v3
	v_add_co_ci_u32_e32 v4, vcc_lo, s13, v4, vcc_lo
	v_add_co_u32 v1, vcc_lo, s18, v1
	global_load_b32 v22, v[5:6], off
	v_add_co_ci_u32_e32 v2, vcc_lo, s19, v2, vcc_lo
	global_load_b32 v3, v[3:4], off
	global_load_b32 v4, v[1:2], off
	s_waitcnt vmcnt(4)
	v_subrev_nc_u32_e32 v7, s27, v7
	s_delay_alu instid0(VALU_DEP_1) | instskip(NEXT) | instid1(VALU_DEP_1)
	v_ashrrev_i32_e32 v8, 31, v7
	v_lshlrev_b64 v[5:6], 4, v[7:8]
	v_add_co_u32 v7, vcc_lo, s24, v16
	v_add_co_ci_u32_e32 v8, vcc_lo, s25, v17, vcc_lo
	s_delay_alu instid0(VALU_DEP_3) | instskip(NEXT) | instid1(VALU_DEP_4)
	v_add_co_u32 v1, vcc_lo, s10, v5
	v_add_co_ci_u32_e32 v2, vcc_lo, s11, v6, vcc_lo
	global_load_b128 v[9:12], v[7:8], off
	global_load_b128 v[5:8], v[1:2], off
	s_waitcnt vmcnt(5)
	v_subrev_nc_u32_e32 v28, s27, v19
	s_waitcnt vmcnt(4)
	v_subrev_nc_u32_e32 v29, s27, v22
	s_waitcnt vmcnt(3)
	v_cmp_lt_i32_e32 vcc_lo, v3, v19
	s_waitcnt vmcnt(2)
	v_cmp_lt_i32_e64 s2, v4, v22
	v_subrev_nc_u32_e32 v18, s27, v3
	v_subrev_nc_u32_e32 v22, s27, v4
	s_delay_alu instid0(VALU_DEP_3) | instskip(NEXT) | instid1(SALU_CYCLE_1)
	s_and_b32 s2, vcc_lo, s2
	s_and_saveexec_b32 s30, s2
	s_cbranch_execz .LBB54_11
; %bb.6:                                ;   in Loop: Header=BB54_4 Depth=1
	v_mov_b32_e32 v20, 0
	v_mov_b32_e32 v21, 0
	s_mov_b32 s31, 0
	s_delay_alu instid0(VALU_DEP_1)
	v_dual_mov_b32 v25, v21 :: v_dual_mov_b32 v24, v20
	s_branch .LBB54_8
.LBB54_7:                               ;   in Loop: Header=BB54_8 Depth=2
	s_or_b32 exec_lo, exec_lo, s2
	v_cmp_le_i32_e32 vcc_lo, v3, v4
	v_add_co_ci_u32_e32 v18, vcc_lo, 0, v18, vcc_lo
	v_cmp_ge_i32_e32 vcc_lo, v3, v4
	v_add_co_ci_u32_e32 v22, vcc_lo, 0, v22, vcc_lo
	s_delay_alu instid0(VALU_DEP_3) | instskip(NEXT) | instid1(VALU_DEP_2)
	v_cmp_ge_i32_e32 vcc_lo, v18, v28
	v_cmp_ge_i32_e64 s2, v22, v29
	s_delay_alu instid0(VALU_DEP_1) | instskip(NEXT) | instid1(SALU_CYCLE_1)
	s_or_b32 s2, vcc_lo, s2
	s_and_b32 s2, exec_lo, s2
	s_delay_alu instid0(SALU_CYCLE_1) | instskip(NEXT) | instid1(SALU_CYCLE_1)
	s_or_b32 s31, s2, s31
	s_and_not1_b32 exec_lo, exec_lo, s31
	s_cbranch_execz .LBB54_10
.LBB54_8:                               ;   Parent Loop BB54_4 Depth=1
                                        ; =>  This Inner Loop Header: Depth=2
	v_ashrrev_i32_e32 v19, 31, v18
	v_ashrrev_i32_e32 v23, 31, v22
	s_mov_b32 s2, exec_lo
	s_delay_alu instid0(VALU_DEP_2) | instskip(NEXT) | instid1(VALU_DEP_2)
	v_lshlrev_b64 v[3:4], 2, v[18:19]
	v_lshlrev_b64 v[1:2], 2, v[22:23]
	s_delay_alu instid0(VALU_DEP_2) | instskip(NEXT) | instid1(VALU_DEP_3)
	v_add_co_u32 v3, vcc_lo, s16, v3
	v_add_co_ci_u32_e32 v4, vcc_lo, s17, v4, vcc_lo
	s_delay_alu instid0(VALU_DEP_3) | instskip(NEXT) | instid1(VALU_DEP_4)
	v_add_co_u32 v30, vcc_lo, s6, v1
	v_add_co_ci_u32_e32 v31, vcc_lo, s7, v2, vcc_lo
	global_load_b32 v3, v[3:4], off
	global_load_b32 v4, v[30:31], off
	s_waitcnt vmcnt(0)
	v_cmpx_eq_u32_e64 v3, v4
	s_cbranch_execz .LBB54_7
; %bb.9:                                ;   in Loop: Header=BB54_8 Depth=2
	v_add_co_u32 v1, vcc_lo, s8, v1
	v_add_co_ci_u32_e32 v2, vcc_lo, s9, v2, vcc_lo
	v_lshlrev_b64 v[30:31], 4, v[18:19]
	global_load_b32 v1, v[1:2], off
	v_add_co_u32 v30, vcc_lo, s10, v30
	v_add_co_ci_u32_e32 v31, vcc_lo, s11, v31, vcc_lo
	s_waitcnt vmcnt(0)
	v_ashrrev_i32_e32 v2, 31, v1
	s_delay_alu instid0(VALU_DEP_1) | instskip(NEXT) | instid1(VALU_DEP_1)
	v_lshlrev_b64 v[1:2], 4, v[1:2]
	v_add_co_u32 v1, vcc_lo, s10, v1
	s_delay_alu instid0(VALU_DEP_2)
	v_add_co_ci_u32_e32 v2, vcc_lo, s11, v2, vcc_lo
	s_clause 0x1
	global_load_b128 v[30:33], v[30:31], off
	global_load_b128 v[34:37], v[1:2], off
	s_waitcnt vmcnt(0)
	v_fma_f64 v[1:2], v[30:31], v[34:35], v[20:21]
	v_fma_f64 v[23:24], v[32:33], v[34:35], v[24:25]
	s_delay_alu instid0(VALU_DEP_2) | instskip(NEXT) | instid1(VALU_DEP_2)
	v_fma_f64 v[20:21], -v[32:33], v[36:37], v[1:2]
	v_fma_f64 v[24:25], v[30:31], v[36:37], v[23:24]
	s_branch .LBB54_7
.LBB54_10:                              ;   in Loop: Header=BB54_4 Depth=1
	s_or_b32 exec_lo, exec_lo, s31
.LBB54_11:                              ;   in Loop: Header=BB54_4 Depth=1
	s_delay_alu instid0(SALU_CYCLE_1)
	s_or_b32 exec_lo, exec_lo, s30
	s_waitcnt vmcnt(1)
	v_add_f64 v[1:2], v[9:10], -v[20:21]
	v_add_f64 v[3:4], v[11:12], -v[24:25]
	s_mov_b32 s2, exec_lo
	v_cmpx_gt_i32_e64 v27, v26
	s_cbranch_execz .LBB54_13
; %bb.12:                               ;   in Loop: Header=BB54_4 Depth=1
	s_waitcnt vmcnt(0)
	v_mul_f64 v[30:31], v[7:8], v[7:8]
	s_delay_alu instid0(VALU_DEP_1) | instskip(NEXT) | instid1(VALU_DEP_1)
	v_fma_f64 v[30:31], v[5:6], v[5:6], v[30:31]
	v_div_scale_f64 v[32:33], null, v[30:31], v[30:31], 1.0
	v_div_scale_f64 v[38:39], vcc_lo, 1.0, v[30:31], 1.0
	s_delay_alu instid0(VALU_DEP_2) | instskip(SKIP_2) | instid1(VALU_DEP_1)
	v_rcp_f64_e32 v[34:35], v[32:33]
	s_waitcnt_depctr 0xfff
	v_fma_f64 v[36:37], -v[32:33], v[34:35], 1.0
	v_fma_f64 v[34:35], v[34:35], v[36:37], v[34:35]
	s_delay_alu instid0(VALU_DEP_1) | instskip(NEXT) | instid1(VALU_DEP_1)
	v_fma_f64 v[36:37], -v[32:33], v[34:35], 1.0
	v_fma_f64 v[34:35], v[34:35], v[36:37], v[34:35]
	s_delay_alu instid0(VALU_DEP_1) | instskip(NEXT) | instid1(VALU_DEP_1)
	v_mul_f64 v[36:37], v[38:39], v[34:35]
	v_fma_f64 v[32:33], -v[32:33], v[36:37], v[38:39]
	s_delay_alu instid0(VALU_DEP_1) | instskip(SKIP_2) | instid1(VALU_DEP_3)
	v_div_fmas_f64 v[32:33], v[32:33], v[34:35], v[36:37]
	v_mul_f64 v[34:35], v[7:8], v[3:4]
	v_mul_f64 v[36:37], v[7:8], -v[1:2]
	v_div_fixup_f64 v[30:31], v[32:33], v[30:31], 1.0
	s_delay_alu instid0(VALU_DEP_3) | instskip(NEXT) | instid1(VALU_DEP_3)
	v_fma_f64 v[1:2], v[1:2], v[5:6], v[34:35]
	v_fma_f64 v[3:4], v[3:4], v[5:6], v[36:37]
	s_delay_alu instid0(VALU_DEP_2) | instskip(NEXT) | instid1(VALU_DEP_2)
	v_mul_f64 v[1:2], v[30:31], v[1:2]
	v_mul_f64 v[3:4], v[30:31], v[3:4]
.LBB54_13:                              ;   in Loop: Header=BB54_4 Depth=1
	s_or_b32 exec_lo, exec_lo, s2
	v_add_f64 v[20:21], v[20:21], -v[9:10]
	v_add_f64 v[9:10], v[24:25], -v[11:12]
	s_mov_b32 s30, exec_lo
	v_cmpx_lt_i32_e64 v22, v29
	s_cbranch_execnz .LBB54_31
; %bb.14:                               ;   in Loop: Header=BB54_4 Depth=1
	s_or_b32 exec_lo, exec_lo, s30
	s_delay_alu instid0(SALU_CYCLE_1)
	s_mov_b32 s30, exec_lo
	v_cmpx_lt_i32_e64 v18, v28
	s_cbranch_execnz .LBB54_38
.LBB54_15:                              ;   in Loop: Header=BB54_4 Depth=1
	s_or_b32 exec_lo, exec_lo, s30
	s_delay_alu instid0(SALU_CYCLE_1)
	s_mov_b32 s2, exec_lo
	v_cmpx_eq_u32_e64 v27, v26
	s_cbranch_execz .LBB54_17
.LBB54_16:                              ;   in Loop: Header=BB54_4 Depth=1
	s_waitcnt vmcnt(0)
	s_delay_alu instid0(VALU_DEP_3) | instskip(NEXT) | instid1(VALU_DEP_3)
	v_add_f64 v[20:21], v[5:6], v[20:21]
	v_add_f64 v[9:10], v[7:8], v[9:10]
.LBB54_17:                              ;   in Loop: Header=BB54_4 Depth=1
	s_or_b32 exec_lo, exec_lo, s2
	s_delay_alu instid0(VALU_DEP_2) | instskip(NEXT) | instid1(VALU_DEP_2)
	v_cmp_gt_f64_e32 vcc_lo, 0, v[20:21]
	v_cmp_gt_f64_e64 s2, 0, v[9:10]
	s_waitcnt vmcnt(0)
	v_xor_b32_e32 v5, 0x80000000, v21
	v_xor_b32_e32 v6, 0x80000000, v10
	s_delay_alu instid0(VALU_DEP_2) | instskip(NEXT) | instid1(VALU_DEP_2)
	v_dual_cndmask_b32 v8, v21, v5 :: v_dual_cndmask_b32 v7, v20, v20
	v_cndmask_b32_e64 v12, v10, v6, s2
	v_cndmask_b32_e64 v11, v9, v9, s2
	s_mov_b32 s2, exec_lo
                                        ; implicit-def: $vgpr5_vgpr6
	s_delay_alu instid0(VALU_DEP_1)
	v_cmpx_ngt_f64_e32 v[7:8], v[11:12]
	s_xor_b32 s2, exec_lo, s2
	s_cbranch_execz .LBB54_21
; %bb.18:                               ;   in Loop: Header=BB54_4 Depth=1
	v_mov_b32_e32 v5, 0
	v_mov_b32_e32 v6, 0
	s_mov_b32 s30, exec_lo
	v_cmpx_neq_f64_e32 0, v[9:10]
	s_cbranch_execz .LBB54_20
; %bb.19:                               ;   in Loop: Header=BB54_4 Depth=1
	v_div_scale_f64 v[5:6], null, v[11:12], v[11:12], v[7:8]
	v_div_scale_f64 v[20:21], vcc_lo, v[7:8], v[11:12], v[7:8]
	s_delay_alu instid0(VALU_DEP_2) | instskip(SKIP_2) | instid1(VALU_DEP_1)
	v_rcp_f64_e32 v[9:10], v[5:6]
	s_waitcnt_depctr 0xfff
	v_fma_f64 v[18:19], -v[5:6], v[9:10], 1.0
	v_fma_f64 v[9:10], v[9:10], v[18:19], v[9:10]
	s_delay_alu instid0(VALU_DEP_1) | instskip(NEXT) | instid1(VALU_DEP_1)
	v_fma_f64 v[18:19], -v[5:6], v[9:10], 1.0
	v_fma_f64 v[9:10], v[9:10], v[18:19], v[9:10]
	s_delay_alu instid0(VALU_DEP_1) | instskip(NEXT) | instid1(VALU_DEP_1)
	v_mul_f64 v[18:19], v[20:21], v[9:10]
	v_fma_f64 v[5:6], -v[5:6], v[18:19], v[20:21]
	s_delay_alu instid0(VALU_DEP_1) | instskip(NEXT) | instid1(VALU_DEP_1)
	v_div_fmas_f64 v[5:6], v[5:6], v[9:10], v[18:19]
	v_div_fixup_f64 v[5:6], v[5:6], v[11:12], v[7:8]
	s_delay_alu instid0(VALU_DEP_1) | instskip(NEXT) | instid1(VALU_DEP_1)
	v_fma_f64 v[5:6], v[5:6], v[5:6], 1.0
	v_cmp_gt_f64_e32 vcc_lo, 0x10000000, v[5:6]
	v_cndmask_b32_e64 v7, 0, 1, vcc_lo
	s_delay_alu instid0(VALU_DEP_1) | instskip(NEXT) | instid1(VALU_DEP_1)
	v_lshlrev_b32_e32 v7, 8, v7
	v_ldexp_f64 v[5:6], v[5:6], v7
	s_delay_alu instid0(VALU_DEP_1) | instskip(SKIP_3) | instid1(VALU_DEP_1)
	v_rsq_f64_e32 v[7:8], v[5:6]
	s_waitcnt_depctr 0xfff
	v_mul_f64 v[9:10], v[5:6], v[7:8]
	v_mul_f64 v[7:8], v[7:8], 0.5
	v_fma_f64 v[18:19], -v[7:8], v[9:10], 0.5
	s_delay_alu instid0(VALU_DEP_1) | instskip(SKIP_1) | instid1(VALU_DEP_2)
	v_fma_f64 v[9:10], v[9:10], v[18:19], v[9:10]
	v_fma_f64 v[7:8], v[7:8], v[18:19], v[7:8]
	v_fma_f64 v[18:19], -v[9:10], v[9:10], v[5:6]
	s_delay_alu instid0(VALU_DEP_1) | instskip(NEXT) | instid1(VALU_DEP_1)
	v_fma_f64 v[9:10], v[18:19], v[7:8], v[9:10]
	v_fma_f64 v[18:19], -v[9:10], v[9:10], v[5:6]
	s_delay_alu instid0(VALU_DEP_1) | instskip(SKIP_2) | instid1(VALU_DEP_2)
	v_fma_f64 v[7:8], v[18:19], v[7:8], v[9:10]
	v_cndmask_b32_e64 v9, 0, 0xffffff80, vcc_lo
	v_cmp_class_f64_e64 vcc_lo, v[5:6], 0x260
	v_ldexp_f64 v[7:8], v[7:8], v9
	s_delay_alu instid0(VALU_DEP_1) | instskip(NEXT) | instid1(VALU_DEP_1)
	v_dual_cndmask_b32 v6, v8, v6 :: v_dual_cndmask_b32 v5, v7, v5
	v_mul_f64 v[5:6], v[11:12], v[5:6]
.LBB54_20:                              ;   in Loop: Header=BB54_4 Depth=1
	s_or_b32 exec_lo, exec_lo, s30
                                        ; implicit-def: $vgpr7_vgpr8
                                        ; implicit-def: $vgpr11_vgpr12
.LBB54_21:                              ;   in Loop: Header=BB54_4 Depth=1
	s_and_not1_saveexec_b32 s2, s2
	s_cbranch_execz .LBB54_23
; %bb.22:                               ;   in Loop: Header=BB54_4 Depth=1
	v_div_scale_f64 v[5:6], null, v[7:8], v[7:8], v[11:12]
	v_div_scale_f64 v[20:21], vcc_lo, v[11:12], v[7:8], v[11:12]
	s_delay_alu instid0(VALU_DEP_2) | instskip(SKIP_2) | instid1(VALU_DEP_1)
	v_rcp_f64_e32 v[9:10], v[5:6]
	s_waitcnt_depctr 0xfff
	v_fma_f64 v[18:19], -v[5:6], v[9:10], 1.0
	v_fma_f64 v[9:10], v[9:10], v[18:19], v[9:10]
	s_delay_alu instid0(VALU_DEP_1) | instskip(NEXT) | instid1(VALU_DEP_1)
	v_fma_f64 v[18:19], -v[5:6], v[9:10], 1.0
	v_fma_f64 v[9:10], v[9:10], v[18:19], v[9:10]
	s_delay_alu instid0(VALU_DEP_1) | instskip(NEXT) | instid1(VALU_DEP_1)
	v_mul_f64 v[18:19], v[20:21], v[9:10]
	v_fma_f64 v[5:6], -v[5:6], v[18:19], v[20:21]
	s_delay_alu instid0(VALU_DEP_1) | instskip(NEXT) | instid1(VALU_DEP_1)
	v_div_fmas_f64 v[5:6], v[5:6], v[9:10], v[18:19]
	v_div_fixup_f64 v[5:6], v[5:6], v[7:8], v[11:12]
	s_delay_alu instid0(VALU_DEP_1) | instskip(NEXT) | instid1(VALU_DEP_1)
	v_fma_f64 v[5:6], v[5:6], v[5:6], 1.0
	v_cmp_gt_f64_e32 vcc_lo, 0x10000000, v[5:6]
	v_cndmask_b32_e64 v9, 0, 1, vcc_lo
	s_delay_alu instid0(VALU_DEP_1) | instskip(NEXT) | instid1(VALU_DEP_1)
	v_lshlrev_b32_e32 v9, 8, v9
	v_ldexp_f64 v[5:6], v[5:6], v9
	s_delay_alu instid0(VALU_DEP_1) | instskip(SKIP_3) | instid1(VALU_DEP_1)
	v_rsq_f64_e32 v[9:10], v[5:6]
	s_waitcnt_depctr 0xfff
	v_mul_f64 v[11:12], v[5:6], v[9:10]
	v_mul_f64 v[9:10], v[9:10], 0.5
	v_fma_f64 v[18:19], -v[9:10], v[11:12], 0.5
	s_delay_alu instid0(VALU_DEP_1) | instskip(SKIP_1) | instid1(VALU_DEP_2)
	v_fma_f64 v[11:12], v[11:12], v[18:19], v[11:12]
	v_fma_f64 v[9:10], v[9:10], v[18:19], v[9:10]
	v_fma_f64 v[18:19], -v[11:12], v[11:12], v[5:6]
	s_delay_alu instid0(VALU_DEP_1) | instskip(NEXT) | instid1(VALU_DEP_1)
	v_fma_f64 v[11:12], v[18:19], v[9:10], v[11:12]
	v_fma_f64 v[18:19], -v[11:12], v[11:12], v[5:6]
	s_delay_alu instid0(VALU_DEP_1) | instskip(SKIP_2) | instid1(VALU_DEP_2)
	v_fma_f64 v[9:10], v[18:19], v[9:10], v[11:12]
	v_cndmask_b32_e64 v11, 0, 0xffffff80, vcc_lo
	v_cmp_class_f64_e64 vcc_lo, v[5:6], 0x260
	v_ldexp_f64 v[9:10], v[9:10], v11
	s_delay_alu instid0(VALU_DEP_1) | instskip(NEXT) | instid1(VALU_DEP_1)
	v_dual_cndmask_b32 v6, v10, v6 :: v_dual_cndmask_b32 v5, v9, v5
	v_mul_f64 v[5:6], v[7:8], v[5:6]
.LBB54_23:                              ;   in Loop: Header=BB54_4 Depth=1
	s_or_b32 exec_lo, exec_lo, s2
	v_cmp_gt_f64_e32 vcc_lo, 0, v[1:2]
	v_cmp_gt_f64_e64 s2, 0, v[3:4]
	v_xor_b32_e32 v7, 0x80000000, v2
	v_xor_b32_e32 v9, 0x80000000, v4
                                        ; implicit-def: $vgpr11_vgpr12
	s_delay_alu instid0(VALU_DEP_2) | instskip(NEXT) | instid1(VALU_DEP_2)
	v_dual_cndmask_b32 v8, v2, v7 :: v_dual_cndmask_b32 v7, v1, v1
	v_cndmask_b32_e64 v10, v4, v9, s2
	v_cndmask_b32_e64 v9, v3, v3, s2
	s_mov_b32 s2, exec_lo
	s_delay_alu instid0(VALU_DEP_1)
	v_cmpx_ngt_f64_e32 v[7:8], v[9:10]
	s_xor_b32 s2, exec_lo, s2
	s_cbranch_execz .LBB54_27
; %bb.24:                               ;   in Loop: Header=BB54_4 Depth=1
	v_mov_b32_e32 v11, 0
	v_mov_b32_e32 v12, 0
	s_mov_b32 s30, exec_lo
	v_cmpx_neq_f64_e32 0, v[3:4]
	s_cbranch_execz .LBB54_26
; %bb.25:                               ;   in Loop: Header=BB54_4 Depth=1
	v_div_scale_f64 v[11:12], null, v[9:10], v[9:10], v[7:8]
	v_div_scale_f64 v[22:23], vcc_lo, v[7:8], v[9:10], v[7:8]
	s_delay_alu instid0(VALU_DEP_2) | instskip(SKIP_2) | instid1(VALU_DEP_1)
	v_rcp_f64_e32 v[18:19], v[11:12]
	s_waitcnt_depctr 0xfff
	v_fma_f64 v[20:21], -v[11:12], v[18:19], 1.0
	v_fma_f64 v[18:19], v[18:19], v[20:21], v[18:19]
	s_delay_alu instid0(VALU_DEP_1) | instskip(NEXT) | instid1(VALU_DEP_1)
	v_fma_f64 v[20:21], -v[11:12], v[18:19], 1.0
	v_fma_f64 v[18:19], v[18:19], v[20:21], v[18:19]
	s_delay_alu instid0(VALU_DEP_1) | instskip(NEXT) | instid1(VALU_DEP_1)
	v_mul_f64 v[20:21], v[22:23], v[18:19]
	v_fma_f64 v[11:12], -v[11:12], v[20:21], v[22:23]
	s_delay_alu instid0(VALU_DEP_1) | instskip(NEXT) | instid1(VALU_DEP_1)
	v_div_fmas_f64 v[11:12], v[11:12], v[18:19], v[20:21]
	v_div_fixup_f64 v[7:8], v[11:12], v[9:10], v[7:8]
	s_delay_alu instid0(VALU_DEP_1) | instskip(NEXT) | instid1(VALU_DEP_1)
	v_fma_f64 v[7:8], v[7:8], v[7:8], 1.0
	v_cmp_gt_f64_e32 vcc_lo, 0x10000000, v[7:8]
	v_cndmask_b32_e64 v11, 0, 1, vcc_lo
	s_delay_alu instid0(VALU_DEP_1) | instskip(NEXT) | instid1(VALU_DEP_1)
	v_lshlrev_b32_e32 v11, 8, v11
	v_ldexp_f64 v[7:8], v[7:8], v11
	s_delay_alu instid0(VALU_DEP_1) | instskip(SKIP_3) | instid1(VALU_DEP_1)
	v_rsq_f64_e32 v[11:12], v[7:8]
	s_waitcnt_depctr 0xfff
	v_mul_f64 v[18:19], v[7:8], v[11:12]
	v_mul_f64 v[11:12], v[11:12], 0.5
	v_fma_f64 v[20:21], -v[11:12], v[18:19], 0.5
	s_delay_alu instid0(VALU_DEP_1) | instskip(SKIP_1) | instid1(VALU_DEP_2)
	v_fma_f64 v[18:19], v[18:19], v[20:21], v[18:19]
	v_fma_f64 v[11:12], v[11:12], v[20:21], v[11:12]
	v_fma_f64 v[20:21], -v[18:19], v[18:19], v[7:8]
	s_delay_alu instid0(VALU_DEP_1) | instskip(NEXT) | instid1(VALU_DEP_1)
	v_fma_f64 v[18:19], v[20:21], v[11:12], v[18:19]
	v_fma_f64 v[20:21], -v[18:19], v[18:19], v[7:8]
	s_delay_alu instid0(VALU_DEP_1) | instskip(SKIP_2) | instid1(VALU_DEP_2)
	v_fma_f64 v[11:12], v[20:21], v[11:12], v[18:19]
	v_cndmask_b32_e64 v18, 0, 0xffffff80, vcc_lo
	v_cmp_class_f64_e64 vcc_lo, v[7:8], 0x260
	v_ldexp_f64 v[11:12], v[11:12], v18
	s_delay_alu instid0(VALU_DEP_1) | instskip(NEXT) | instid1(VALU_DEP_1)
	v_dual_cndmask_b32 v8, v12, v8 :: v_dual_cndmask_b32 v7, v11, v7
	v_mul_f64 v[11:12], v[9:10], v[7:8]
.LBB54_26:                              ;   in Loop: Header=BB54_4 Depth=1
	s_or_b32 exec_lo, exec_lo, s30
                                        ; implicit-def: $vgpr7_vgpr8
                                        ; implicit-def: $vgpr9_vgpr10
.LBB54_27:                              ;   in Loop: Header=BB54_4 Depth=1
	s_and_not1_saveexec_b32 s2, s2
	s_cbranch_execz .LBB54_29
; %bb.28:                               ;   in Loop: Header=BB54_4 Depth=1
	v_div_scale_f64 v[11:12], null, v[7:8], v[7:8], v[9:10]
	v_div_scale_f64 v[22:23], vcc_lo, v[9:10], v[7:8], v[9:10]
	s_delay_alu instid0(VALU_DEP_2) | instskip(SKIP_2) | instid1(VALU_DEP_1)
	v_rcp_f64_e32 v[18:19], v[11:12]
	s_waitcnt_depctr 0xfff
	v_fma_f64 v[20:21], -v[11:12], v[18:19], 1.0
	v_fma_f64 v[18:19], v[18:19], v[20:21], v[18:19]
	s_delay_alu instid0(VALU_DEP_1) | instskip(NEXT) | instid1(VALU_DEP_1)
	v_fma_f64 v[20:21], -v[11:12], v[18:19], 1.0
	v_fma_f64 v[18:19], v[18:19], v[20:21], v[18:19]
	s_delay_alu instid0(VALU_DEP_1) | instskip(NEXT) | instid1(VALU_DEP_1)
	v_mul_f64 v[20:21], v[22:23], v[18:19]
	v_fma_f64 v[11:12], -v[11:12], v[20:21], v[22:23]
	s_delay_alu instid0(VALU_DEP_1) | instskip(NEXT) | instid1(VALU_DEP_1)
	v_div_fmas_f64 v[11:12], v[11:12], v[18:19], v[20:21]
	v_div_fixup_f64 v[9:10], v[11:12], v[7:8], v[9:10]
	s_delay_alu instid0(VALU_DEP_1) | instskip(NEXT) | instid1(VALU_DEP_1)
	v_fma_f64 v[9:10], v[9:10], v[9:10], 1.0
	v_cmp_gt_f64_e32 vcc_lo, 0x10000000, v[9:10]
	v_cndmask_b32_e64 v11, 0, 1, vcc_lo
	s_delay_alu instid0(VALU_DEP_1) | instskip(NEXT) | instid1(VALU_DEP_1)
	v_lshlrev_b32_e32 v11, 8, v11
	v_ldexp_f64 v[9:10], v[9:10], v11
	s_delay_alu instid0(VALU_DEP_1) | instskip(SKIP_3) | instid1(VALU_DEP_1)
	v_rsq_f64_e32 v[11:12], v[9:10]
	s_waitcnt_depctr 0xfff
	v_mul_f64 v[18:19], v[9:10], v[11:12]
	v_mul_f64 v[11:12], v[11:12], 0.5
	v_fma_f64 v[20:21], -v[11:12], v[18:19], 0.5
	s_delay_alu instid0(VALU_DEP_1) | instskip(SKIP_1) | instid1(VALU_DEP_2)
	v_fma_f64 v[18:19], v[18:19], v[20:21], v[18:19]
	v_fma_f64 v[11:12], v[11:12], v[20:21], v[11:12]
	v_fma_f64 v[20:21], -v[18:19], v[18:19], v[9:10]
	s_delay_alu instid0(VALU_DEP_1) | instskip(NEXT) | instid1(VALU_DEP_1)
	v_fma_f64 v[18:19], v[20:21], v[11:12], v[18:19]
	v_fma_f64 v[20:21], -v[18:19], v[18:19], v[9:10]
	s_delay_alu instid0(VALU_DEP_1) | instskip(SKIP_2) | instid1(VALU_DEP_2)
	v_fma_f64 v[11:12], v[20:21], v[11:12], v[18:19]
	v_cndmask_b32_e64 v18, 0, 0xffffff80, vcc_lo
	v_cmp_class_f64_e64 vcc_lo, v[9:10], 0x260
	v_ldexp_f64 v[11:12], v[11:12], v18
	s_delay_alu instid0(VALU_DEP_1) | instskip(NEXT) | instid1(VALU_DEP_1)
	v_dual_cndmask_b32 v10, v12, v10 :: v_dual_cndmask_b32 v9, v11, v9
	v_mul_f64 v[11:12], v[7:8], v[9:10]
.LBB54_29:                              ;   in Loop: Header=BB54_4 Depth=1
	s_or_b32 exec_lo, exec_lo, s2
	v_cmp_nlg_f64_e64 s30, 0x7ff00000, |v[5:6]|
	v_cmp_gt_f64_e32 vcc_lo, v[13:14], v[5:6]
	s_delay_alu instid0(VALU_DEP_3) | instskip(NEXT) | instid1(VALU_DEP_1)
	v_cmp_class_f64_e64 s2, v[11:12], 0x1f8
	s_and_saveexec_b32 s31, s2
	s_cbranch_execz .LBB54_2
; %bb.30:                               ;   in Loop: Header=BB54_4 Depth=1
	v_add_co_u32 v7, s2, s10, v16
	s_delay_alu instid0(VALU_DEP_1)
	v_add_co_ci_u32_e64 v8, s2, s11, v17, s2
	global_store_b128 v[7:8], v[1:4], off
	s_branch .LBB54_2
.LBB54_31:                              ;   in Loop: Header=BB54_4 Depth=1
	v_ashrrev_i32_e32 v23, 31, v22
	s_mov_b32 s33, 0
                                        ; implicit-def: $sgpr31
                                        ; implicit-def: $sgpr35
                                        ; implicit-def: $sgpr34
	s_delay_alu instid0(VALU_DEP_1) | instskip(NEXT) | instid1(VALU_DEP_1)
	v_lshlrev_b64 v[11:12], 2, v[22:23]
	v_add_co_u32 v11, vcc_lo, s6, v11
	s_delay_alu instid0(VALU_DEP_2)
	v_add_co_ci_u32_e32 v12, vcc_lo, s7, v12, vcc_lo
	s_set_inst_prefetch_distance 0x1
	s_branch .LBB54_33
	.p2align	6
.LBB54_32:                              ;   in Loop: Header=BB54_33 Depth=2
	s_or_b32 exec_lo, exec_lo, s36
	s_delay_alu instid0(SALU_CYCLE_1) | instskip(NEXT) | instid1(SALU_CYCLE_1)
	s_and_b32 s2, exec_lo, s35
	s_or_b32 s33, s2, s33
	s_and_not1_b32 s2, s31, exec_lo
	s_and_b32 s31, s34, exec_lo
	s_delay_alu instid0(SALU_CYCLE_1)
	s_or_b32 s31, s2, s31
	s_and_not1_b32 exec_lo, exec_lo, s33
	s_cbranch_execz .LBB54_35
.LBB54_33:                              ;   Parent Loop BB54_4 Depth=1
                                        ; =>  This Inner Loop Header: Depth=2
	global_load_b32 v19, v[11:12], off
	v_dual_mov_b32 v25, v23 :: v_dual_mov_b32 v24, v22
	s_or_b32 s34, s34, exec_lo
	s_or_b32 s35, s35, exec_lo
	s_mov_b32 s36, exec_lo
                                        ; implicit-def: $vgpr22_vgpr23
	s_waitcnt vmcnt(0)
	v_cmpx_ne_u32_e64 v19, v27
	s_cbranch_execz .LBB54_32
; %bb.34:                               ;   in Loop: Header=BB54_33 Depth=2
	v_add_co_u32 v22, vcc_lo, v24, 1
	v_add_co_ci_u32_e32 v23, vcc_lo, 0, v25, vcc_lo
	v_add_co_u32 v11, s2, v11, 4
	s_delay_alu instid0(VALU_DEP_3) | instskip(SKIP_4) | instid1(SALU_CYCLE_1)
	v_cmp_ge_i32_e32 vcc_lo, v22, v29
	v_add_co_ci_u32_e64 v12, s2, 0, v12, s2
	s_and_not1_b32 s2, s35, exec_lo
	s_and_not1_b32 s34, s34, exec_lo
	s_and_b32 s35, vcc_lo, exec_lo
	s_or_b32 s35, s2, s35
	s_branch .LBB54_32
.LBB54_35:                              ;   in Loop: Header=BB54_4 Depth=1
	s_set_inst_prefetch_distance 0x2
	s_or_b32 exec_lo, exec_lo, s33
	s_and_saveexec_b32 s2, s31
	s_delay_alu instid0(SALU_CYCLE_1)
	s_xor_b32 s2, exec_lo, s2
	s_cbranch_execz .LBB54_37
; %bb.36:                               ;   in Loop: Header=BB54_4 Depth=1
	v_lshlrev_b64 v[11:12], 2, v[24:25]
	s_delay_alu instid0(VALU_DEP_1) | instskip(NEXT) | instid1(VALU_DEP_2)
	v_add_co_u32 v11, vcc_lo, s8, v11
	v_add_co_ci_u32_e32 v12, vcc_lo, s9, v12, vcc_lo
	global_load_b32 v11, v[11:12], off
	s_waitcnt vmcnt(0)
	v_ashrrev_i32_e32 v12, 31, v11
	s_delay_alu instid0(VALU_DEP_1) | instskip(NEXT) | instid1(VALU_DEP_1)
	v_lshlrev_b64 v[11:12], 4, v[11:12]
	v_add_co_u32 v11, vcc_lo, s10, v11
	s_delay_alu instid0(VALU_DEP_2)
	v_add_co_ci_u32_e32 v12, vcc_lo, s11, v12, vcc_lo
	global_load_b128 v[22:25], v[11:12], off
	s_waitcnt vmcnt(0)
	v_add_f64 v[20:21], v[20:21], v[22:23]
	v_add_f64 v[9:10], v[9:10], v[24:25]
.LBB54_37:                              ;   in Loop: Header=BB54_4 Depth=1
	s_or_b32 exec_lo, exec_lo, s2
	s_delay_alu instid0(SALU_CYCLE_1) | instskip(NEXT) | instid1(SALU_CYCLE_1)
	s_or_b32 exec_lo, exec_lo, s30
	s_mov_b32 s30, exec_lo
	v_cmpx_lt_i32_e64 v18, v28
	s_cbranch_execz .LBB54_15
.LBB54_38:                              ;   in Loop: Header=BB54_4 Depth=1
	v_ashrrev_i32_e32 v19, 31, v18
	s_mov_b32 s33, 0
                                        ; implicit-def: $sgpr31
                                        ; implicit-def: $sgpr35
                                        ; implicit-def: $sgpr34
	s_delay_alu instid0(VALU_DEP_1) | instskip(NEXT) | instid1(VALU_DEP_1)
	v_lshlrev_b64 v[11:12], 2, v[18:19]
	v_add_co_u32 v11, vcc_lo, s16, v11
	s_delay_alu instid0(VALU_DEP_2)
	v_add_co_ci_u32_e32 v12, vcc_lo, s17, v12, vcc_lo
	s_set_inst_prefetch_distance 0x1
	s_branch .LBB54_40
	.p2align	6
.LBB54_39:                              ;   in Loop: Header=BB54_40 Depth=2
	s_or_b32 exec_lo, exec_lo, s36
	s_delay_alu instid0(SALU_CYCLE_1) | instskip(NEXT) | instid1(SALU_CYCLE_1)
	s_and_b32 s2, exec_lo, s35
	s_or_b32 s33, s2, s33
	s_and_not1_b32 s2, s31, exec_lo
	s_and_b32 s31, s34, exec_lo
	s_delay_alu instid0(SALU_CYCLE_1)
	s_or_b32 s31, s2, s31
	s_and_not1_b32 exec_lo, exec_lo, s33
	s_cbranch_execz .LBB54_42
.LBB54_40:                              ;   Parent Loop BB54_4 Depth=1
                                        ; =>  This Inner Loop Header: Depth=2
	global_load_b32 v24, v[11:12], off
	v_dual_mov_b32 v23, v19 :: v_dual_mov_b32 v22, v18
	s_or_b32 s34, s34, exec_lo
	s_or_b32 s35, s35, exec_lo
	s_mov_b32 s36, exec_lo
                                        ; implicit-def: $vgpr18_vgpr19
	s_waitcnt vmcnt(0)
	v_cmpx_ne_u32_e64 v24, v26
	s_cbranch_execz .LBB54_39
; %bb.41:                               ;   in Loop: Header=BB54_40 Depth=2
	v_add_co_u32 v18, vcc_lo, v22, 1
	v_add_co_ci_u32_e32 v19, vcc_lo, 0, v23, vcc_lo
	v_add_co_u32 v11, s2, v11, 4
	s_delay_alu instid0(VALU_DEP_3) | instskip(SKIP_4) | instid1(SALU_CYCLE_1)
	v_cmp_ge_i32_e32 vcc_lo, v18, v28
	v_add_co_ci_u32_e64 v12, s2, 0, v12, s2
	s_and_not1_b32 s2, s35, exec_lo
	s_and_not1_b32 s34, s34, exec_lo
	s_and_b32 s35, vcc_lo, exec_lo
	s_or_b32 s35, s2, s35
	s_branch .LBB54_39
.LBB54_42:                              ;   in Loop: Header=BB54_4 Depth=1
	s_set_inst_prefetch_distance 0x2
	s_or_b32 exec_lo, exec_lo, s33
	s_and_saveexec_b32 s2, s31
	s_delay_alu instid0(SALU_CYCLE_1)
	s_xor_b32 s2, exec_lo, s2
	s_cbranch_execz .LBB54_44
; %bb.43:                               ;   in Loop: Header=BB54_4 Depth=1
	v_lshlrev_b64 v[11:12], 4, v[22:23]
	s_delay_alu instid0(VALU_DEP_1) | instskip(NEXT) | instid1(VALU_DEP_2)
	v_add_co_u32 v11, vcc_lo, s10, v11
	v_add_co_ci_u32_e32 v12, vcc_lo, s11, v12, vcc_lo
	global_load_b128 v[22:25], v[11:12], off
	s_waitcnt vmcnt(0)
	v_fma_f64 v[11:12], v[22:23], v[5:6], v[20:21]
	v_fma_f64 v[9:10], v[24:25], v[5:6], v[9:10]
	s_delay_alu instid0(VALU_DEP_2) | instskip(NEXT) | instid1(VALU_DEP_2)
	v_fma_f64 v[20:21], -v[24:25], v[7:8], v[11:12]
	v_fma_f64 v[9:10], v[22:23], v[7:8], v[9:10]
.LBB54_44:                              ;   in Loop: Header=BB54_4 Depth=1
	s_or_b32 exec_lo, exec_lo, s2
	s_delay_alu instid0(SALU_CYCLE_1) | instskip(NEXT) | instid1(SALU_CYCLE_1)
	s_or_b32 exec_lo, exec_lo, s30
	s_mov_b32 s2, exec_lo
	v_cmpx_eq_u32_e64 v27, v26
	s_cbranch_execnz .LBB54_16
	s_branch .LBB54_17
.LBB54_45:
	s_or_b32 exec_lo, exec_lo, s26
	v_mbcnt_lo_u32_b32 v5, -1, 0
	s_delay_alu instid0(VALU_DEP_1) | instskip(SKIP_2) | instid1(VALU_DEP_3)
	v_xor_b32_e32 v1, 16, v5
	v_xor_b32_e32 v3, 8, v5
	;; [unrolled: 1-line block ×3, first 2 shown]
	v_cmp_gt_i32_e32 vcc_lo, 32, v1
	s_delay_alu instid0(VALU_DEP_3) | instskip(SKIP_1) | instid1(VALU_DEP_2)
	v_cmp_gt_i32_e64 s2, 32, v3
	v_cndmask_b32_e32 v1, v5, v1, vcc_lo
	v_cndmask_b32_e64 v3, v5, v3, s2
	v_cmp_gt_i32_e64 s2, 32, v6
	s_delay_alu instid0(VALU_DEP_3) | instskip(NEXT) | instid1(VALU_DEP_2)
	v_lshlrev_b32_e32 v2, 2, v1
	v_cndmask_b32_e64 v6, v5, v6, s2
	ds_bpermute_b32 v1, v2, v13
	ds_bpermute_b32 v2, v2, v14
	v_lshlrev_b32_e32 v6, 2, v6
	s_waitcnt lgkmcnt(0)
	v_cmp_lt_f64_e32 vcc_lo, v[13:14], v[1:2]
	v_dual_cndmask_b32 v2, v14, v2 :: v_dual_lshlrev_b32 v3, 2, v3
	v_cndmask_b32_e32 v1, v13, v1, vcc_lo
	ds_bpermute_b32 v4, v3, v2
	ds_bpermute_b32 v3, v3, v1
	s_waitcnt lgkmcnt(0)
	v_cmp_lt_f64_e32 vcc_lo, v[1:2], v[3:4]
	v_dual_cndmask_b32 v2, v2, v4 :: v_dual_cndmask_b32 v1, v1, v3
	ds_bpermute_b32 v4, v6, v2
	ds_bpermute_b32 v3, v6, v1
	v_xor_b32_e32 v6, 2, v5
	s_delay_alu instid0(VALU_DEP_1) | instskip(NEXT) | instid1(VALU_DEP_1)
	v_cmp_gt_i32_e64 s2, 32, v6
	v_cndmask_b32_e64 v6, v5, v6, s2
	s_waitcnt lgkmcnt(0)
	v_cmp_lt_f64_e32 vcc_lo, v[1:2], v[3:4]
	s_delay_alu instid0(VALU_DEP_2) | instskip(SKIP_4) | instid1(VALU_DEP_1)
	v_dual_cndmask_b32 v1, v1, v3 :: v_dual_lshlrev_b32 v6, 2, v6
	v_cndmask_b32_e32 v2, v2, v4, vcc_lo
	ds_bpermute_b32 v3, v6, v1
	ds_bpermute_b32 v4, v6, v2
	v_xor_b32_e32 v6, 1, v5
	v_cmp_gt_i32_e64 s2, 32, v6
	s_delay_alu instid0(VALU_DEP_1) | instskip(SKIP_1) | instid1(VALU_DEP_1)
	v_cndmask_b32_e64 v5, v5, v6, s2
	s_mov_b32 s2, exec_lo
	v_lshlrev_b32_e32 v5, 2, v5
	s_waitcnt lgkmcnt(0)
	v_cmp_lt_f64_e32 vcc_lo, v[1:2], v[3:4]
	v_dual_cndmask_b32 v2, v2, v4 :: v_dual_cndmask_b32 v1, v1, v3
	ds_bpermute_b32 v4, v5, v2
	ds_bpermute_b32 v3, v5, v1
	v_and_b32_e32 v5, 31, v0
	s_delay_alu instid0(VALU_DEP_1)
	v_cmpx_eq_u32_e32 31, v5
	s_cbranch_execz .LBB54_47
; %bb.46:
	s_waitcnt lgkmcnt(0)
	v_cmp_lt_f64_e32 vcc_lo, v[1:2], v[3:4]
	v_lshrrev_b32_e32 v5, 2, v0
	s_delay_alu instid0(VALU_DEP_1)
	v_dual_cndmask_b32 v2, v2, v4 :: v_dual_and_b32 v5, 0xf8, v5
	v_cndmask_b32_e32 v1, v1, v3, vcc_lo
	ds_store_b64 v5, v[1:2]
.LBB54_47:
	s_or_b32 exec_lo, exec_lo, s2
	v_lshlrev_b32_e32 v1, 3, v0
	s_mov_b32 s2, exec_lo
	s_waitcnt lgkmcnt(0)
	s_waitcnt_vscnt null, 0x0
	s_barrier
	buffer_gl0_inv
	v_cmpx_gt_u32_e32 16, v0
	s_cbranch_execz .LBB54_49
; %bb.48:
	ds_load_2addr_b64 v[2:5], v1 offset1:16
	s_waitcnt lgkmcnt(0)
	v_cmp_lt_f64_e32 vcc_lo, v[2:3], v[4:5]
	v_dual_cndmask_b32 v3, v3, v5 :: v_dual_cndmask_b32 v2, v2, v4
	ds_store_b64 v1, v[2:3]
.LBB54_49:
	s_or_b32 exec_lo, exec_lo, s2
	s_delay_alu instid0(SALU_CYCLE_1)
	s_mov_b32 s2, exec_lo
	s_waitcnt lgkmcnt(0)
	s_barrier
	buffer_gl0_inv
	v_cmpx_gt_u32_e32 8, v0
	s_cbranch_execz .LBB54_51
; %bb.50:
	ds_load_2addr_b64 v[2:5], v1 offset1:8
	s_waitcnt lgkmcnt(0)
	v_cmp_lt_f64_e32 vcc_lo, v[2:3], v[4:5]
	v_dual_cndmask_b32 v3, v3, v5 :: v_dual_cndmask_b32 v2, v2, v4
	ds_store_b64 v1, v[2:3]
.LBB54_51:
	s_or_b32 exec_lo, exec_lo, s2
	s_delay_alu instid0(SALU_CYCLE_1)
	s_mov_b32 s2, exec_lo
	s_waitcnt lgkmcnt(0)
	;; [unrolled: 15-line block ×3, first 2 shown]
	s_barrier
	buffer_gl0_inv
	v_cmpx_gt_u32_e32 2, v0
	s_cbranch_execz .LBB54_55
; %bb.54:
	ds_load_2addr_b64 v[2:5], v1 offset1:2
	s_waitcnt lgkmcnt(0)
	v_cmp_lt_f64_e32 vcc_lo, v[2:3], v[4:5]
	v_dual_cndmask_b32 v3, v3, v5 :: v_dual_cndmask_b32 v2, v2, v4
	ds_store_b64 v1, v[2:3]
.LBB54_55:
	s_or_b32 exec_lo, exec_lo, s2
	v_cmp_eq_u32_e32 vcc_lo, 0, v0
	s_waitcnt lgkmcnt(0)
	s_barrier
	buffer_gl0_inv
	s_and_saveexec_b32 s3, vcc_lo
	s_cbranch_execz .LBB54_57
; %bb.56:
	v_mov_b32_e32 v4, 0
	ds_load_b128 v[0:3], v4
	s_waitcnt lgkmcnt(0)
	v_cmp_lt_f64_e64 s2, v[0:1], v[2:3]
	s_delay_alu instid0(VALU_DEP_1)
	v_cndmask_b32_e64 v1, v1, v3, s2
	v_cndmask_b32_e64 v0, v0, v2, s2
	ds_store_b64 v4, v[0:1]
.LBB54_57:
	s_or_b32 exec_lo, exec_lo, s3
	s_waitcnt lgkmcnt(0)
	s_barrier
	buffer_gl0_inv
	s_and_saveexec_b32 s2, vcc_lo
	s_cbranch_execz .LBB54_62
; %bb.58:
	s_load_b128 s[4:7], s[0:1], 0x68
	v_mov_b32_e32 v4, 0
	s_brev_b32 s3, 1
	s_mov_b32 s2, 0
	ds_load_b64 v[0:1], v4
	s_waitcnt lgkmcnt(0)
	s_load_b64 s[0:1], s[6:7], 0x0
	global_load_b64 v[2:3], v4, s[4:5] glc
	s_waitcnt lgkmcnt(0)
	v_div_scale_f64 v[5:6], null, s[0:1], s[0:1], v[0:1]
	s_delay_alu instid0(VALU_DEP_1) | instskip(SKIP_2) | instid1(VALU_DEP_1)
	v_rcp_f64_e32 v[7:8], v[5:6]
	s_waitcnt_depctr 0xfff
	v_fma_f64 v[9:10], -v[5:6], v[7:8], 1.0
	v_fma_f64 v[7:8], v[7:8], v[9:10], v[7:8]
	s_delay_alu instid0(VALU_DEP_1) | instskip(NEXT) | instid1(VALU_DEP_1)
	v_fma_f64 v[9:10], -v[5:6], v[7:8], 1.0
	v_fma_f64 v[7:8], v[7:8], v[9:10], v[7:8]
	v_div_scale_f64 v[9:10], vcc_lo, v[0:1], s[0:1], v[0:1]
	s_delay_alu instid0(VALU_DEP_1) | instskip(NEXT) | instid1(VALU_DEP_1)
	v_mul_f64 v[11:12], v[9:10], v[7:8]
	v_fma_f64 v[5:6], -v[5:6], v[11:12], v[9:10]
	s_waitcnt vmcnt(0)
	v_cmp_eq_u64_e64 s6, s[2:3], v[2:3]
                                        ; implicit-def: $sgpr3
	s_delay_alu instid0(VALU_DEP_2) | instskip(NEXT) | instid1(VALU_DEP_1)
	v_div_fmas_f64 v[5:6], v[5:6], v[7:8], v[11:12]
	v_div_fixup_f64 v[0:1], v[5:6], s[0:1], v[0:1]
                                        ; implicit-def: $sgpr1
	s_delay_alu instid0(VALU_DEP_1)
	v_cmp_eq_f64_e32 vcc_lo, 0, v[0:1]
	s_set_inst_prefetch_distance 0x1
	s_branch .LBB54_60
	.p2align	6
.LBB54_59:                              ;   in Loop: Header=BB54_60 Depth=1
	s_or_b32 exec_lo, exec_lo, s7
	s_delay_alu instid0(SALU_CYCLE_1) | instskip(NEXT) | instid1(SALU_CYCLE_1)
	s_and_b32 s0, exec_lo, s1
	s_or_b32 s2, s0, s2
	s_and_not1_b32 s0, s6, exec_lo
	s_and_b32 s6, s3, exec_lo
	s_delay_alu instid0(SALU_CYCLE_1)
	s_or_b32 s6, s0, s6
	s_and_not1_b32 exec_lo, exec_lo, s2
	s_cbranch_execz .LBB54_62
.LBB54_60:                              ; =>This Inner Loop Header: Depth=1
	v_cmp_lt_f64_e64 s0, v[2:3], v[0:1]
	s_and_b32 s7, vcc_lo, s6
	s_and_not1_b32 s3, s3, exec_lo
	s_or_b32 s1, s1, exec_lo
	s_delay_alu instid0(VALU_DEP_1) | instskip(NEXT) | instid1(SALU_CYCLE_1)
	s_or_b32 s0, s0, s7
	s_and_saveexec_b32 s7, s0
	s_cbranch_execz .LBB54_59
; %bb.61:                               ;   in Loop: Header=BB54_60 Depth=1
	global_atomic_cmpswap_b64 v[5:6], v4, v[0:3], s[4:5] glc
	s_and_not1_b32 s3, s3, exec_lo
	s_and_not1_b32 s1, s1, exec_lo
	s_waitcnt vmcnt(0)
	v_cmp_eq_u64_e64 s0, v[5:6], v[2:3]
	s_delay_alu instid0(VALU_DEP_1) | instskip(SKIP_2) | instid1(SALU_CYCLE_1)
	v_cndmask_b32_e64 v3, v6, v3, s0
	v_cndmask_b32_e64 v2, v5, v2, s0
	s_and_b32 s0, s0, exec_lo
	s_or_b32 s1, s1, s0
	s_delay_alu instid0(VALU_DEP_1) | instskip(SKIP_1) | instid1(VALU_DEP_2)
	v_cmp_class_f64_e64 s6, v[2:3], 32
	v_dual_mov_b32 v2, v5 :: v_dual_mov_b32 v3, v6
	s_and_b32 s6, s6, exec_lo
	s_delay_alu instid0(SALU_CYCLE_1)
	s_or_b32 s3, s3, s6
                                        ; implicit-def: $sgpr6
	s_branch .LBB54_59
.LBB54_62:
	s_set_inst_prefetch_distance 0x2
	s_endpgm
	.section	.rodata,"a",@progbits
	.p2align	6, 0x0
	.amdhsa_kernel _ZN9rocsparseL20kernel_calculate_cooILi1024ELi32ELb1E21rocsparse_complex_numIdEiiEEvT4_T3_PKS3_S6_PKT2_21rocsparse_index_base_PKS4_SC_S6_SC_SC_S6_SC_PS7_PNS_15floating_traitsIS7_E6data_tEPKSG_
		.amdhsa_group_segment_fixed_size 256
		.amdhsa_private_segment_fixed_size 0
		.amdhsa_kernarg_size 120
		.amdhsa_user_sgpr_count 15
		.amdhsa_user_sgpr_dispatch_ptr 0
		.amdhsa_user_sgpr_queue_ptr 0
		.amdhsa_user_sgpr_kernarg_segment_ptr 1
		.amdhsa_user_sgpr_dispatch_id 0
		.amdhsa_user_sgpr_private_segment_size 0
		.amdhsa_wavefront_size32 1
		.amdhsa_uses_dynamic_stack 0
		.amdhsa_enable_private_segment 0
		.amdhsa_system_sgpr_workgroup_id_x 1
		.amdhsa_system_sgpr_workgroup_id_y 0
		.amdhsa_system_sgpr_workgroup_id_z 0
		.amdhsa_system_sgpr_workgroup_info 0
		.amdhsa_system_vgpr_workitem_id 0
		.amdhsa_next_free_vgpr 40
		.amdhsa_next_free_sgpr 37
		.amdhsa_reserve_vcc 1
		.amdhsa_float_round_mode_32 0
		.amdhsa_float_round_mode_16_64 0
		.amdhsa_float_denorm_mode_32 3
		.amdhsa_float_denorm_mode_16_64 3
		.amdhsa_dx10_clamp 1
		.amdhsa_ieee_mode 1
		.amdhsa_fp16_overflow 0
		.amdhsa_workgroup_processor_mode 1
		.amdhsa_memory_ordered 1
		.amdhsa_forward_progress 0
		.amdhsa_shared_vgpr_count 0
		.amdhsa_exception_fp_ieee_invalid_op 0
		.amdhsa_exception_fp_denorm_src 0
		.amdhsa_exception_fp_ieee_div_zero 0
		.amdhsa_exception_fp_ieee_overflow 0
		.amdhsa_exception_fp_ieee_underflow 0
		.amdhsa_exception_fp_ieee_inexact 0
		.amdhsa_exception_int_div_zero 0
	.end_amdhsa_kernel
	.section	.text._ZN9rocsparseL20kernel_calculate_cooILi1024ELi32ELb1E21rocsparse_complex_numIdEiiEEvT4_T3_PKS3_S6_PKT2_21rocsparse_index_base_PKS4_SC_S6_SC_SC_S6_SC_PS7_PNS_15floating_traitsIS7_E6data_tEPKSG_,"axG",@progbits,_ZN9rocsparseL20kernel_calculate_cooILi1024ELi32ELb1E21rocsparse_complex_numIdEiiEEvT4_T3_PKS3_S6_PKT2_21rocsparse_index_base_PKS4_SC_S6_SC_SC_S6_SC_PS7_PNS_15floating_traitsIS7_E6data_tEPKSG_,comdat
.Lfunc_end54:
	.size	_ZN9rocsparseL20kernel_calculate_cooILi1024ELi32ELb1E21rocsparse_complex_numIdEiiEEvT4_T3_PKS3_S6_PKT2_21rocsparse_index_base_PKS4_SC_S6_SC_SC_S6_SC_PS7_PNS_15floating_traitsIS7_E6data_tEPKSG_, .Lfunc_end54-_ZN9rocsparseL20kernel_calculate_cooILi1024ELi32ELb1E21rocsparse_complex_numIdEiiEEvT4_T3_PKS3_S6_PKT2_21rocsparse_index_base_PKS4_SC_S6_SC_SC_S6_SC_PS7_PNS_15floating_traitsIS7_E6data_tEPKSG_
                                        ; -- End function
	.section	.AMDGPU.csdata,"",@progbits
; Kernel info:
; codeLenInByte = 4448
; NumSgprs: 39
; NumVgprs: 40
; ScratchSize: 0
; MemoryBound: 1
; FloatMode: 240
; IeeeMode: 1
; LDSByteSize: 256 bytes/workgroup (compile time only)
; SGPRBlocks: 4
; VGPRBlocks: 4
; NumSGPRsForWavesPerEU: 39
; NumVGPRsForWavesPerEU: 40
; Occupancy: 16
; WaveLimiterHint : 1
; COMPUTE_PGM_RSRC2:SCRATCH_EN: 0
; COMPUTE_PGM_RSRC2:USER_SGPR: 15
; COMPUTE_PGM_RSRC2:TRAP_HANDLER: 0
; COMPUTE_PGM_RSRC2:TGID_X_EN: 1
; COMPUTE_PGM_RSRC2:TGID_Y_EN: 0
; COMPUTE_PGM_RSRC2:TGID_Z_EN: 0
; COMPUTE_PGM_RSRC2:TIDIG_COMP_CNT: 0
	.section	.text._ZN9rocsparseL20kernel_calculate_cooILi1024ELi64ELb1E21rocsparse_complex_numIdEiiEEvT4_T3_PKS3_S6_PKT2_21rocsparse_index_base_PKS4_SC_S6_SC_SC_S6_SC_PS7_PNS_15floating_traitsIS7_E6data_tEPKSG_,"axG",@progbits,_ZN9rocsparseL20kernel_calculate_cooILi1024ELi64ELb1E21rocsparse_complex_numIdEiiEEvT4_T3_PKS3_S6_PKT2_21rocsparse_index_base_PKS4_SC_S6_SC_SC_S6_SC_PS7_PNS_15floating_traitsIS7_E6data_tEPKSG_,comdat
	.globl	_ZN9rocsparseL20kernel_calculate_cooILi1024ELi64ELb1E21rocsparse_complex_numIdEiiEEvT4_T3_PKS3_S6_PKT2_21rocsparse_index_base_PKS4_SC_S6_SC_SC_S6_SC_PS7_PNS_15floating_traitsIS7_E6data_tEPKSG_ ; -- Begin function _ZN9rocsparseL20kernel_calculate_cooILi1024ELi64ELb1E21rocsparse_complex_numIdEiiEEvT4_T3_PKS3_S6_PKT2_21rocsparse_index_base_PKS4_SC_S6_SC_SC_S6_SC_PS7_PNS_15floating_traitsIS7_E6data_tEPKSG_
	.p2align	8
	.type	_ZN9rocsparseL20kernel_calculate_cooILi1024ELi64ELb1E21rocsparse_complex_numIdEiiEEvT4_T3_PKS3_S6_PKT2_21rocsparse_index_base_PKS4_SC_S6_SC_SC_S6_SC_PS7_PNS_15floating_traitsIS7_E6data_tEPKSG_,@function
_ZN9rocsparseL20kernel_calculate_cooILi1024ELi64ELb1E21rocsparse_complex_numIdEiiEEvT4_T3_PKS3_S6_PKT2_21rocsparse_index_base_PKS4_SC_S6_SC_SC_S6_SC_PS7_PNS_15floating_traitsIS7_E6data_tEPKSG_: ; @_ZN9rocsparseL20kernel_calculate_cooILi1024ELi64ELb1E21rocsparse_complex_numIdEiiEEvT4_T3_PKS3_S6_PKT2_21rocsparse_index_base_PKS4_SC_S6_SC_SC_S6_SC_PS7_PNS_15floating_traitsIS7_E6data_tEPKSG_
; %bb.0:
	s_load_b32 s3, s[0:1], 0x4
	v_mov_b32_e32 v13, 0
	v_lshl_or_b32 v15, s15, 16, v0
	v_mov_b32_e32 v14, 0
	s_mov_b32 s26, exec_lo
	s_waitcnt lgkmcnt(0)
	s_delay_alu instid0(VALU_DEP_2)
	v_cmpx_gt_i32_e64 s3, v15
	s_cbranch_execz .LBB55_45
; %bb.1:
	s_clause 0x4
	s_load_b256 s[4:11], s[0:1], 0x48
	s_load_b128 s[20:23], s[0:1], 0x8
	s_load_b64 s[24:25], s[0:1], 0x18
	s_load_b256 s[12:19], s[0:1], 0x28
	s_load_b32 s27, s[0:1], 0x20
	v_mov_b32_e32 v13, 0
	v_mov_b32_e32 v14, 0
	s_mov_b32 s28, 0
	s_branch .LBB55_4
.LBB55_2:                               ;   in Loop: Header=BB55_4 Depth=1
	s_or_b32 exec_lo, exec_lo, s31
	s_delay_alu instid0(VALU_DEP_3)
	s_or_b32 vcc_lo, s30, vcc_lo
	v_dual_cndmask_b32 v14, v6, v14 :: v_dual_cndmask_b32 v13, v5, v13
.LBB55_3:                               ;   in Loop: Header=BB55_4 Depth=1
	s_or_b32 exec_lo, exec_lo, s29
	v_add_nc_u32_e32 v15, 0x400, v15
	s_add_i32 s28, s28, 1
	s_delay_alu instid0(SALU_CYCLE_1)
	s_cmp_lg_u32 s28, 64
	s_cbranch_scc0 .LBB55_45
.LBB55_4:                               ; =>This Loop Header: Depth=1
                                        ;     Child Loop BB55_8 Depth 2
                                        ;     Child Loop BB55_33 Depth 2
	;; [unrolled: 1-line block ×3, first 2 shown]
	s_mov_b32 s29, exec_lo
	v_cmpx_gt_i32_e64 s3, v15
	s_cbranch_execz .LBB55_3
; %bb.5:                                ;   in Loop: Header=BB55_4 Depth=1
	v_ashrrev_i32_e32 v16, 31, v15
	v_mov_b32_e32 v20, 0
	v_mov_b32_e32 v21, 0
	s_delay_alu instid0(VALU_DEP_3) | instskip(SKIP_1) | instid1(VALU_DEP_3)
	v_lshlrev_b64 v[1:2], 2, v[15:16]
	v_lshlrev_b64 v[16:17], 4, v[15:16]
	v_dual_mov_b32 v25, v21 :: v_dual_mov_b32 v24, v20
	s_waitcnt lgkmcnt(0)
	s_delay_alu instid0(VALU_DEP_3) | instskip(NEXT) | instid1(VALU_DEP_4)
	v_add_co_u32 v3, vcc_lo, s22, v1
	v_add_co_ci_u32_e32 v4, vcc_lo, s23, v2, vcc_lo
	v_add_co_u32 v1, vcc_lo, s20, v1
	v_add_co_ci_u32_e32 v2, vcc_lo, s21, v2, vcc_lo
	global_load_b32 v26, v[3:4], off
	global_load_b32 v27, v[1:2], off
	s_waitcnt vmcnt(1)
	v_subrev_nc_u32_e32 v1, s27, v26
	s_delay_alu instid0(VALU_DEP_1) | instskip(NEXT) | instid1(VALU_DEP_1)
	v_ashrrev_i32_e32 v2, 31, v1
	v_lshlrev_b64 v[1:2], 2, v[1:2]
	s_delay_alu instid0(VALU_DEP_1) | instskip(NEXT) | instid1(VALU_DEP_2)
	v_add_co_u32 v3, vcc_lo, s14, v1
	v_add_co_ci_u32_e32 v4, vcc_lo, s15, v2, vcc_lo
	global_load_b32 v7, v[3:4], off
	s_waitcnt vmcnt(1)
	v_subrev_nc_u32_e32 v3, s27, v27
	s_delay_alu instid0(VALU_DEP_1) | instskip(NEXT) | instid1(VALU_DEP_1)
	v_ashrrev_i32_e32 v4, 31, v3
	v_lshlrev_b64 v[3:4], 2, v[3:4]
	s_delay_alu instid0(VALU_DEP_1) | instskip(NEXT) | instid1(VALU_DEP_2)
	v_add_co_u32 v5, vcc_lo, s14, v3
	v_add_co_ci_u32_e32 v6, vcc_lo, s15, v4, vcc_lo
	global_load_b32 v19, v[5:6], off
	v_add_co_u32 v5, vcc_lo, s4, v1
	v_add_co_ci_u32_e32 v6, vcc_lo, s5, v2, vcc_lo
	v_add_co_u32 v3, vcc_lo, s12, v3
	v_add_co_ci_u32_e32 v4, vcc_lo, s13, v4, vcc_lo
	v_add_co_u32 v1, vcc_lo, s18, v1
	global_load_b32 v22, v[5:6], off
	v_add_co_ci_u32_e32 v2, vcc_lo, s19, v2, vcc_lo
	global_load_b32 v3, v[3:4], off
	global_load_b32 v4, v[1:2], off
	s_waitcnt vmcnt(4)
	v_subrev_nc_u32_e32 v7, s27, v7
	s_delay_alu instid0(VALU_DEP_1) | instskip(NEXT) | instid1(VALU_DEP_1)
	v_ashrrev_i32_e32 v8, 31, v7
	v_lshlrev_b64 v[5:6], 4, v[7:8]
	v_add_co_u32 v7, vcc_lo, s24, v16
	v_add_co_ci_u32_e32 v8, vcc_lo, s25, v17, vcc_lo
	s_delay_alu instid0(VALU_DEP_3) | instskip(NEXT) | instid1(VALU_DEP_4)
	v_add_co_u32 v1, vcc_lo, s10, v5
	v_add_co_ci_u32_e32 v2, vcc_lo, s11, v6, vcc_lo
	global_load_b128 v[9:12], v[7:8], off
	global_load_b128 v[5:8], v[1:2], off
	s_waitcnt vmcnt(5)
	v_subrev_nc_u32_e32 v28, s27, v19
	s_waitcnt vmcnt(4)
	v_subrev_nc_u32_e32 v29, s27, v22
	s_waitcnt vmcnt(3)
	v_cmp_lt_i32_e32 vcc_lo, v3, v19
	s_waitcnt vmcnt(2)
	v_cmp_lt_i32_e64 s2, v4, v22
	v_subrev_nc_u32_e32 v18, s27, v3
	v_subrev_nc_u32_e32 v22, s27, v4
	s_delay_alu instid0(VALU_DEP_3) | instskip(NEXT) | instid1(SALU_CYCLE_1)
	s_and_b32 s2, vcc_lo, s2
	s_and_saveexec_b32 s30, s2
	s_cbranch_execz .LBB55_11
; %bb.6:                                ;   in Loop: Header=BB55_4 Depth=1
	v_mov_b32_e32 v20, 0
	v_mov_b32_e32 v21, 0
	s_mov_b32 s31, 0
	s_delay_alu instid0(VALU_DEP_1)
	v_dual_mov_b32 v25, v21 :: v_dual_mov_b32 v24, v20
	s_branch .LBB55_8
.LBB55_7:                               ;   in Loop: Header=BB55_8 Depth=2
	s_or_b32 exec_lo, exec_lo, s2
	v_cmp_le_i32_e32 vcc_lo, v3, v4
	v_add_co_ci_u32_e32 v18, vcc_lo, 0, v18, vcc_lo
	v_cmp_ge_i32_e32 vcc_lo, v3, v4
	v_add_co_ci_u32_e32 v22, vcc_lo, 0, v22, vcc_lo
	s_delay_alu instid0(VALU_DEP_3) | instskip(NEXT) | instid1(VALU_DEP_2)
	v_cmp_ge_i32_e32 vcc_lo, v18, v28
	v_cmp_ge_i32_e64 s2, v22, v29
	s_delay_alu instid0(VALU_DEP_1) | instskip(NEXT) | instid1(SALU_CYCLE_1)
	s_or_b32 s2, vcc_lo, s2
	s_and_b32 s2, exec_lo, s2
	s_delay_alu instid0(SALU_CYCLE_1) | instskip(NEXT) | instid1(SALU_CYCLE_1)
	s_or_b32 s31, s2, s31
	s_and_not1_b32 exec_lo, exec_lo, s31
	s_cbranch_execz .LBB55_10
.LBB55_8:                               ;   Parent Loop BB55_4 Depth=1
                                        ; =>  This Inner Loop Header: Depth=2
	v_ashrrev_i32_e32 v19, 31, v18
	v_ashrrev_i32_e32 v23, 31, v22
	s_mov_b32 s2, exec_lo
	s_delay_alu instid0(VALU_DEP_2) | instskip(NEXT) | instid1(VALU_DEP_2)
	v_lshlrev_b64 v[3:4], 2, v[18:19]
	v_lshlrev_b64 v[1:2], 2, v[22:23]
	s_delay_alu instid0(VALU_DEP_2) | instskip(NEXT) | instid1(VALU_DEP_3)
	v_add_co_u32 v3, vcc_lo, s16, v3
	v_add_co_ci_u32_e32 v4, vcc_lo, s17, v4, vcc_lo
	s_delay_alu instid0(VALU_DEP_3) | instskip(NEXT) | instid1(VALU_DEP_4)
	v_add_co_u32 v30, vcc_lo, s6, v1
	v_add_co_ci_u32_e32 v31, vcc_lo, s7, v2, vcc_lo
	global_load_b32 v3, v[3:4], off
	global_load_b32 v4, v[30:31], off
	s_waitcnt vmcnt(0)
	v_cmpx_eq_u32_e64 v3, v4
	s_cbranch_execz .LBB55_7
; %bb.9:                                ;   in Loop: Header=BB55_8 Depth=2
	v_add_co_u32 v1, vcc_lo, s8, v1
	v_add_co_ci_u32_e32 v2, vcc_lo, s9, v2, vcc_lo
	v_lshlrev_b64 v[30:31], 4, v[18:19]
	global_load_b32 v1, v[1:2], off
	v_add_co_u32 v30, vcc_lo, s10, v30
	v_add_co_ci_u32_e32 v31, vcc_lo, s11, v31, vcc_lo
	s_waitcnt vmcnt(0)
	v_ashrrev_i32_e32 v2, 31, v1
	s_delay_alu instid0(VALU_DEP_1) | instskip(NEXT) | instid1(VALU_DEP_1)
	v_lshlrev_b64 v[1:2], 4, v[1:2]
	v_add_co_u32 v1, vcc_lo, s10, v1
	s_delay_alu instid0(VALU_DEP_2)
	v_add_co_ci_u32_e32 v2, vcc_lo, s11, v2, vcc_lo
	s_clause 0x1
	global_load_b128 v[30:33], v[30:31], off
	global_load_b128 v[34:37], v[1:2], off
	s_waitcnt vmcnt(0)
	v_fma_f64 v[1:2], v[30:31], v[34:35], v[20:21]
	v_fma_f64 v[23:24], v[32:33], v[34:35], v[24:25]
	s_delay_alu instid0(VALU_DEP_2) | instskip(NEXT) | instid1(VALU_DEP_2)
	v_fma_f64 v[20:21], -v[32:33], v[36:37], v[1:2]
	v_fma_f64 v[24:25], v[30:31], v[36:37], v[23:24]
	s_branch .LBB55_7
.LBB55_10:                              ;   in Loop: Header=BB55_4 Depth=1
	s_or_b32 exec_lo, exec_lo, s31
.LBB55_11:                              ;   in Loop: Header=BB55_4 Depth=1
	s_delay_alu instid0(SALU_CYCLE_1)
	s_or_b32 exec_lo, exec_lo, s30
	s_waitcnt vmcnt(1)
	v_add_f64 v[1:2], v[9:10], -v[20:21]
	v_add_f64 v[3:4], v[11:12], -v[24:25]
	s_mov_b32 s2, exec_lo
	v_cmpx_gt_i32_e64 v27, v26
	s_cbranch_execz .LBB55_13
; %bb.12:                               ;   in Loop: Header=BB55_4 Depth=1
	s_waitcnt vmcnt(0)
	v_mul_f64 v[30:31], v[7:8], v[7:8]
	s_delay_alu instid0(VALU_DEP_1) | instskip(NEXT) | instid1(VALU_DEP_1)
	v_fma_f64 v[30:31], v[5:6], v[5:6], v[30:31]
	v_div_scale_f64 v[32:33], null, v[30:31], v[30:31], 1.0
	v_div_scale_f64 v[38:39], vcc_lo, 1.0, v[30:31], 1.0
	s_delay_alu instid0(VALU_DEP_2) | instskip(SKIP_2) | instid1(VALU_DEP_1)
	v_rcp_f64_e32 v[34:35], v[32:33]
	s_waitcnt_depctr 0xfff
	v_fma_f64 v[36:37], -v[32:33], v[34:35], 1.0
	v_fma_f64 v[34:35], v[34:35], v[36:37], v[34:35]
	s_delay_alu instid0(VALU_DEP_1) | instskip(NEXT) | instid1(VALU_DEP_1)
	v_fma_f64 v[36:37], -v[32:33], v[34:35], 1.0
	v_fma_f64 v[34:35], v[34:35], v[36:37], v[34:35]
	s_delay_alu instid0(VALU_DEP_1) | instskip(NEXT) | instid1(VALU_DEP_1)
	v_mul_f64 v[36:37], v[38:39], v[34:35]
	v_fma_f64 v[32:33], -v[32:33], v[36:37], v[38:39]
	s_delay_alu instid0(VALU_DEP_1) | instskip(SKIP_2) | instid1(VALU_DEP_3)
	v_div_fmas_f64 v[32:33], v[32:33], v[34:35], v[36:37]
	v_mul_f64 v[34:35], v[7:8], v[3:4]
	v_mul_f64 v[36:37], v[7:8], -v[1:2]
	v_div_fixup_f64 v[30:31], v[32:33], v[30:31], 1.0
	s_delay_alu instid0(VALU_DEP_3) | instskip(NEXT) | instid1(VALU_DEP_3)
	v_fma_f64 v[1:2], v[1:2], v[5:6], v[34:35]
	v_fma_f64 v[3:4], v[3:4], v[5:6], v[36:37]
	s_delay_alu instid0(VALU_DEP_2) | instskip(NEXT) | instid1(VALU_DEP_2)
	v_mul_f64 v[1:2], v[30:31], v[1:2]
	v_mul_f64 v[3:4], v[30:31], v[3:4]
.LBB55_13:                              ;   in Loop: Header=BB55_4 Depth=1
	s_or_b32 exec_lo, exec_lo, s2
	v_add_f64 v[20:21], v[20:21], -v[9:10]
	v_add_f64 v[9:10], v[24:25], -v[11:12]
	s_mov_b32 s30, exec_lo
	v_cmpx_lt_i32_e64 v22, v29
	s_cbranch_execnz .LBB55_31
; %bb.14:                               ;   in Loop: Header=BB55_4 Depth=1
	s_or_b32 exec_lo, exec_lo, s30
	s_delay_alu instid0(SALU_CYCLE_1)
	s_mov_b32 s30, exec_lo
	v_cmpx_lt_i32_e64 v18, v28
	s_cbranch_execnz .LBB55_38
.LBB55_15:                              ;   in Loop: Header=BB55_4 Depth=1
	s_or_b32 exec_lo, exec_lo, s30
	s_delay_alu instid0(SALU_CYCLE_1)
	s_mov_b32 s2, exec_lo
	v_cmpx_eq_u32_e64 v27, v26
	s_cbranch_execz .LBB55_17
.LBB55_16:                              ;   in Loop: Header=BB55_4 Depth=1
	s_waitcnt vmcnt(0)
	s_delay_alu instid0(VALU_DEP_3) | instskip(NEXT) | instid1(VALU_DEP_3)
	v_add_f64 v[20:21], v[5:6], v[20:21]
	v_add_f64 v[9:10], v[7:8], v[9:10]
.LBB55_17:                              ;   in Loop: Header=BB55_4 Depth=1
	s_or_b32 exec_lo, exec_lo, s2
	s_delay_alu instid0(VALU_DEP_2) | instskip(NEXT) | instid1(VALU_DEP_2)
	v_cmp_gt_f64_e32 vcc_lo, 0, v[20:21]
	v_cmp_gt_f64_e64 s2, 0, v[9:10]
	s_waitcnt vmcnt(0)
	v_xor_b32_e32 v5, 0x80000000, v21
	v_xor_b32_e32 v6, 0x80000000, v10
	s_delay_alu instid0(VALU_DEP_2) | instskip(NEXT) | instid1(VALU_DEP_2)
	v_dual_cndmask_b32 v8, v21, v5 :: v_dual_cndmask_b32 v7, v20, v20
	v_cndmask_b32_e64 v12, v10, v6, s2
	v_cndmask_b32_e64 v11, v9, v9, s2
	s_mov_b32 s2, exec_lo
                                        ; implicit-def: $vgpr5_vgpr6
	s_delay_alu instid0(VALU_DEP_1)
	v_cmpx_ngt_f64_e32 v[7:8], v[11:12]
	s_xor_b32 s2, exec_lo, s2
	s_cbranch_execz .LBB55_21
; %bb.18:                               ;   in Loop: Header=BB55_4 Depth=1
	v_mov_b32_e32 v5, 0
	v_mov_b32_e32 v6, 0
	s_mov_b32 s30, exec_lo
	v_cmpx_neq_f64_e32 0, v[9:10]
	s_cbranch_execz .LBB55_20
; %bb.19:                               ;   in Loop: Header=BB55_4 Depth=1
	v_div_scale_f64 v[5:6], null, v[11:12], v[11:12], v[7:8]
	v_div_scale_f64 v[20:21], vcc_lo, v[7:8], v[11:12], v[7:8]
	s_delay_alu instid0(VALU_DEP_2) | instskip(SKIP_2) | instid1(VALU_DEP_1)
	v_rcp_f64_e32 v[9:10], v[5:6]
	s_waitcnt_depctr 0xfff
	v_fma_f64 v[18:19], -v[5:6], v[9:10], 1.0
	v_fma_f64 v[9:10], v[9:10], v[18:19], v[9:10]
	s_delay_alu instid0(VALU_DEP_1) | instskip(NEXT) | instid1(VALU_DEP_1)
	v_fma_f64 v[18:19], -v[5:6], v[9:10], 1.0
	v_fma_f64 v[9:10], v[9:10], v[18:19], v[9:10]
	s_delay_alu instid0(VALU_DEP_1) | instskip(NEXT) | instid1(VALU_DEP_1)
	v_mul_f64 v[18:19], v[20:21], v[9:10]
	v_fma_f64 v[5:6], -v[5:6], v[18:19], v[20:21]
	s_delay_alu instid0(VALU_DEP_1) | instskip(NEXT) | instid1(VALU_DEP_1)
	v_div_fmas_f64 v[5:6], v[5:6], v[9:10], v[18:19]
	v_div_fixup_f64 v[5:6], v[5:6], v[11:12], v[7:8]
	s_delay_alu instid0(VALU_DEP_1) | instskip(NEXT) | instid1(VALU_DEP_1)
	v_fma_f64 v[5:6], v[5:6], v[5:6], 1.0
	v_cmp_gt_f64_e32 vcc_lo, 0x10000000, v[5:6]
	v_cndmask_b32_e64 v7, 0, 1, vcc_lo
	s_delay_alu instid0(VALU_DEP_1) | instskip(NEXT) | instid1(VALU_DEP_1)
	v_lshlrev_b32_e32 v7, 8, v7
	v_ldexp_f64 v[5:6], v[5:6], v7
	s_delay_alu instid0(VALU_DEP_1) | instskip(SKIP_3) | instid1(VALU_DEP_1)
	v_rsq_f64_e32 v[7:8], v[5:6]
	s_waitcnt_depctr 0xfff
	v_mul_f64 v[9:10], v[5:6], v[7:8]
	v_mul_f64 v[7:8], v[7:8], 0.5
	v_fma_f64 v[18:19], -v[7:8], v[9:10], 0.5
	s_delay_alu instid0(VALU_DEP_1) | instskip(SKIP_1) | instid1(VALU_DEP_2)
	v_fma_f64 v[9:10], v[9:10], v[18:19], v[9:10]
	v_fma_f64 v[7:8], v[7:8], v[18:19], v[7:8]
	v_fma_f64 v[18:19], -v[9:10], v[9:10], v[5:6]
	s_delay_alu instid0(VALU_DEP_1) | instskip(NEXT) | instid1(VALU_DEP_1)
	v_fma_f64 v[9:10], v[18:19], v[7:8], v[9:10]
	v_fma_f64 v[18:19], -v[9:10], v[9:10], v[5:6]
	s_delay_alu instid0(VALU_DEP_1) | instskip(SKIP_2) | instid1(VALU_DEP_2)
	v_fma_f64 v[7:8], v[18:19], v[7:8], v[9:10]
	v_cndmask_b32_e64 v9, 0, 0xffffff80, vcc_lo
	v_cmp_class_f64_e64 vcc_lo, v[5:6], 0x260
	v_ldexp_f64 v[7:8], v[7:8], v9
	s_delay_alu instid0(VALU_DEP_1) | instskip(NEXT) | instid1(VALU_DEP_1)
	v_dual_cndmask_b32 v6, v8, v6 :: v_dual_cndmask_b32 v5, v7, v5
	v_mul_f64 v[5:6], v[11:12], v[5:6]
.LBB55_20:                              ;   in Loop: Header=BB55_4 Depth=1
	s_or_b32 exec_lo, exec_lo, s30
                                        ; implicit-def: $vgpr7_vgpr8
                                        ; implicit-def: $vgpr11_vgpr12
.LBB55_21:                              ;   in Loop: Header=BB55_4 Depth=1
	s_and_not1_saveexec_b32 s2, s2
	s_cbranch_execz .LBB55_23
; %bb.22:                               ;   in Loop: Header=BB55_4 Depth=1
	v_div_scale_f64 v[5:6], null, v[7:8], v[7:8], v[11:12]
	v_div_scale_f64 v[20:21], vcc_lo, v[11:12], v[7:8], v[11:12]
	s_delay_alu instid0(VALU_DEP_2) | instskip(SKIP_2) | instid1(VALU_DEP_1)
	v_rcp_f64_e32 v[9:10], v[5:6]
	s_waitcnt_depctr 0xfff
	v_fma_f64 v[18:19], -v[5:6], v[9:10], 1.0
	v_fma_f64 v[9:10], v[9:10], v[18:19], v[9:10]
	s_delay_alu instid0(VALU_DEP_1) | instskip(NEXT) | instid1(VALU_DEP_1)
	v_fma_f64 v[18:19], -v[5:6], v[9:10], 1.0
	v_fma_f64 v[9:10], v[9:10], v[18:19], v[9:10]
	s_delay_alu instid0(VALU_DEP_1) | instskip(NEXT) | instid1(VALU_DEP_1)
	v_mul_f64 v[18:19], v[20:21], v[9:10]
	v_fma_f64 v[5:6], -v[5:6], v[18:19], v[20:21]
	s_delay_alu instid0(VALU_DEP_1) | instskip(NEXT) | instid1(VALU_DEP_1)
	v_div_fmas_f64 v[5:6], v[5:6], v[9:10], v[18:19]
	v_div_fixup_f64 v[5:6], v[5:6], v[7:8], v[11:12]
	s_delay_alu instid0(VALU_DEP_1) | instskip(NEXT) | instid1(VALU_DEP_1)
	v_fma_f64 v[5:6], v[5:6], v[5:6], 1.0
	v_cmp_gt_f64_e32 vcc_lo, 0x10000000, v[5:6]
	v_cndmask_b32_e64 v9, 0, 1, vcc_lo
	s_delay_alu instid0(VALU_DEP_1) | instskip(NEXT) | instid1(VALU_DEP_1)
	v_lshlrev_b32_e32 v9, 8, v9
	v_ldexp_f64 v[5:6], v[5:6], v9
	s_delay_alu instid0(VALU_DEP_1) | instskip(SKIP_3) | instid1(VALU_DEP_1)
	v_rsq_f64_e32 v[9:10], v[5:6]
	s_waitcnt_depctr 0xfff
	v_mul_f64 v[11:12], v[5:6], v[9:10]
	v_mul_f64 v[9:10], v[9:10], 0.5
	v_fma_f64 v[18:19], -v[9:10], v[11:12], 0.5
	s_delay_alu instid0(VALU_DEP_1) | instskip(SKIP_1) | instid1(VALU_DEP_2)
	v_fma_f64 v[11:12], v[11:12], v[18:19], v[11:12]
	v_fma_f64 v[9:10], v[9:10], v[18:19], v[9:10]
	v_fma_f64 v[18:19], -v[11:12], v[11:12], v[5:6]
	s_delay_alu instid0(VALU_DEP_1) | instskip(NEXT) | instid1(VALU_DEP_1)
	v_fma_f64 v[11:12], v[18:19], v[9:10], v[11:12]
	v_fma_f64 v[18:19], -v[11:12], v[11:12], v[5:6]
	s_delay_alu instid0(VALU_DEP_1) | instskip(SKIP_2) | instid1(VALU_DEP_2)
	v_fma_f64 v[9:10], v[18:19], v[9:10], v[11:12]
	v_cndmask_b32_e64 v11, 0, 0xffffff80, vcc_lo
	v_cmp_class_f64_e64 vcc_lo, v[5:6], 0x260
	v_ldexp_f64 v[9:10], v[9:10], v11
	s_delay_alu instid0(VALU_DEP_1) | instskip(NEXT) | instid1(VALU_DEP_1)
	v_dual_cndmask_b32 v6, v10, v6 :: v_dual_cndmask_b32 v5, v9, v5
	v_mul_f64 v[5:6], v[7:8], v[5:6]
.LBB55_23:                              ;   in Loop: Header=BB55_4 Depth=1
	s_or_b32 exec_lo, exec_lo, s2
	v_cmp_gt_f64_e32 vcc_lo, 0, v[1:2]
	v_cmp_gt_f64_e64 s2, 0, v[3:4]
	v_xor_b32_e32 v7, 0x80000000, v2
	v_xor_b32_e32 v9, 0x80000000, v4
                                        ; implicit-def: $vgpr11_vgpr12
	s_delay_alu instid0(VALU_DEP_2) | instskip(NEXT) | instid1(VALU_DEP_2)
	v_dual_cndmask_b32 v8, v2, v7 :: v_dual_cndmask_b32 v7, v1, v1
	v_cndmask_b32_e64 v10, v4, v9, s2
	v_cndmask_b32_e64 v9, v3, v3, s2
	s_mov_b32 s2, exec_lo
	s_delay_alu instid0(VALU_DEP_1)
	v_cmpx_ngt_f64_e32 v[7:8], v[9:10]
	s_xor_b32 s2, exec_lo, s2
	s_cbranch_execz .LBB55_27
; %bb.24:                               ;   in Loop: Header=BB55_4 Depth=1
	v_mov_b32_e32 v11, 0
	v_mov_b32_e32 v12, 0
	s_mov_b32 s30, exec_lo
	v_cmpx_neq_f64_e32 0, v[3:4]
	s_cbranch_execz .LBB55_26
; %bb.25:                               ;   in Loop: Header=BB55_4 Depth=1
	v_div_scale_f64 v[11:12], null, v[9:10], v[9:10], v[7:8]
	v_div_scale_f64 v[22:23], vcc_lo, v[7:8], v[9:10], v[7:8]
	s_delay_alu instid0(VALU_DEP_2) | instskip(SKIP_2) | instid1(VALU_DEP_1)
	v_rcp_f64_e32 v[18:19], v[11:12]
	s_waitcnt_depctr 0xfff
	v_fma_f64 v[20:21], -v[11:12], v[18:19], 1.0
	v_fma_f64 v[18:19], v[18:19], v[20:21], v[18:19]
	s_delay_alu instid0(VALU_DEP_1) | instskip(NEXT) | instid1(VALU_DEP_1)
	v_fma_f64 v[20:21], -v[11:12], v[18:19], 1.0
	v_fma_f64 v[18:19], v[18:19], v[20:21], v[18:19]
	s_delay_alu instid0(VALU_DEP_1) | instskip(NEXT) | instid1(VALU_DEP_1)
	v_mul_f64 v[20:21], v[22:23], v[18:19]
	v_fma_f64 v[11:12], -v[11:12], v[20:21], v[22:23]
	s_delay_alu instid0(VALU_DEP_1) | instskip(NEXT) | instid1(VALU_DEP_1)
	v_div_fmas_f64 v[11:12], v[11:12], v[18:19], v[20:21]
	v_div_fixup_f64 v[7:8], v[11:12], v[9:10], v[7:8]
	s_delay_alu instid0(VALU_DEP_1) | instskip(NEXT) | instid1(VALU_DEP_1)
	v_fma_f64 v[7:8], v[7:8], v[7:8], 1.0
	v_cmp_gt_f64_e32 vcc_lo, 0x10000000, v[7:8]
	v_cndmask_b32_e64 v11, 0, 1, vcc_lo
	s_delay_alu instid0(VALU_DEP_1) | instskip(NEXT) | instid1(VALU_DEP_1)
	v_lshlrev_b32_e32 v11, 8, v11
	v_ldexp_f64 v[7:8], v[7:8], v11
	s_delay_alu instid0(VALU_DEP_1) | instskip(SKIP_3) | instid1(VALU_DEP_1)
	v_rsq_f64_e32 v[11:12], v[7:8]
	s_waitcnt_depctr 0xfff
	v_mul_f64 v[18:19], v[7:8], v[11:12]
	v_mul_f64 v[11:12], v[11:12], 0.5
	v_fma_f64 v[20:21], -v[11:12], v[18:19], 0.5
	s_delay_alu instid0(VALU_DEP_1) | instskip(SKIP_1) | instid1(VALU_DEP_2)
	v_fma_f64 v[18:19], v[18:19], v[20:21], v[18:19]
	v_fma_f64 v[11:12], v[11:12], v[20:21], v[11:12]
	v_fma_f64 v[20:21], -v[18:19], v[18:19], v[7:8]
	s_delay_alu instid0(VALU_DEP_1) | instskip(NEXT) | instid1(VALU_DEP_1)
	v_fma_f64 v[18:19], v[20:21], v[11:12], v[18:19]
	v_fma_f64 v[20:21], -v[18:19], v[18:19], v[7:8]
	s_delay_alu instid0(VALU_DEP_1) | instskip(SKIP_2) | instid1(VALU_DEP_2)
	v_fma_f64 v[11:12], v[20:21], v[11:12], v[18:19]
	v_cndmask_b32_e64 v18, 0, 0xffffff80, vcc_lo
	v_cmp_class_f64_e64 vcc_lo, v[7:8], 0x260
	v_ldexp_f64 v[11:12], v[11:12], v18
	s_delay_alu instid0(VALU_DEP_1) | instskip(NEXT) | instid1(VALU_DEP_1)
	v_dual_cndmask_b32 v8, v12, v8 :: v_dual_cndmask_b32 v7, v11, v7
	v_mul_f64 v[11:12], v[9:10], v[7:8]
.LBB55_26:                              ;   in Loop: Header=BB55_4 Depth=1
	s_or_b32 exec_lo, exec_lo, s30
                                        ; implicit-def: $vgpr7_vgpr8
                                        ; implicit-def: $vgpr9_vgpr10
.LBB55_27:                              ;   in Loop: Header=BB55_4 Depth=1
	s_and_not1_saveexec_b32 s2, s2
	s_cbranch_execz .LBB55_29
; %bb.28:                               ;   in Loop: Header=BB55_4 Depth=1
	v_div_scale_f64 v[11:12], null, v[7:8], v[7:8], v[9:10]
	v_div_scale_f64 v[22:23], vcc_lo, v[9:10], v[7:8], v[9:10]
	s_delay_alu instid0(VALU_DEP_2) | instskip(SKIP_2) | instid1(VALU_DEP_1)
	v_rcp_f64_e32 v[18:19], v[11:12]
	s_waitcnt_depctr 0xfff
	v_fma_f64 v[20:21], -v[11:12], v[18:19], 1.0
	v_fma_f64 v[18:19], v[18:19], v[20:21], v[18:19]
	s_delay_alu instid0(VALU_DEP_1) | instskip(NEXT) | instid1(VALU_DEP_1)
	v_fma_f64 v[20:21], -v[11:12], v[18:19], 1.0
	v_fma_f64 v[18:19], v[18:19], v[20:21], v[18:19]
	s_delay_alu instid0(VALU_DEP_1) | instskip(NEXT) | instid1(VALU_DEP_1)
	v_mul_f64 v[20:21], v[22:23], v[18:19]
	v_fma_f64 v[11:12], -v[11:12], v[20:21], v[22:23]
	s_delay_alu instid0(VALU_DEP_1) | instskip(NEXT) | instid1(VALU_DEP_1)
	v_div_fmas_f64 v[11:12], v[11:12], v[18:19], v[20:21]
	v_div_fixup_f64 v[9:10], v[11:12], v[7:8], v[9:10]
	s_delay_alu instid0(VALU_DEP_1) | instskip(NEXT) | instid1(VALU_DEP_1)
	v_fma_f64 v[9:10], v[9:10], v[9:10], 1.0
	v_cmp_gt_f64_e32 vcc_lo, 0x10000000, v[9:10]
	v_cndmask_b32_e64 v11, 0, 1, vcc_lo
	s_delay_alu instid0(VALU_DEP_1) | instskip(NEXT) | instid1(VALU_DEP_1)
	v_lshlrev_b32_e32 v11, 8, v11
	v_ldexp_f64 v[9:10], v[9:10], v11
	s_delay_alu instid0(VALU_DEP_1) | instskip(SKIP_3) | instid1(VALU_DEP_1)
	v_rsq_f64_e32 v[11:12], v[9:10]
	s_waitcnt_depctr 0xfff
	v_mul_f64 v[18:19], v[9:10], v[11:12]
	v_mul_f64 v[11:12], v[11:12], 0.5
	v_fma_f64 v[20:21], -v[11:12], v[18:19], 0.5
	s_delay_alu instid0(VALU_DEP_1) | instskip(SKIP_1) | instid1(VALU_DEP_2)
	v_fma_f64 v[18:19], v[18:19], v[20:21], v[18:19]
	v_fma_f64 v[11:12], v[11:12], v[20:21], v[11:12]
	v_fma_f64 v[20:21], -v[18:19], v[18:19], v[9:10]
	s_delay_alu instid0(VALU_DEP_1) | instskip(NEXT) | instid1(VALU_DEP_1)
	v_fma_f64 v[18:19], v[20:21], v[11:12], v[18:19]
	v_fma_f64 v[20:21], -v[18:19], v[18:19], v[9:10]
	s_delay_alu instid0(VALU_DEP_1) | instskip(SKIP_2) | instid1(VALU_DEP_2)
	v_fma_f64 v[11:12], v[20:21], v[11:12], v[18:19]
	v_cndmask_b32_e64 v18, 0, 0xffffff80, vcc_lo
	v_cmp_class_f64_e64 vcc_lo, v[9:10], 0x260
	v_ldexp_f64 v[11:12], v[11:12], v18
	s_delay_alu instid0(VALU_DEP_1) | instskip(NEXT) | instid1(VALU_DEP_1)
	v_dual_cndmask_b32 v10, v12, v10 :: v_dual_cndmask_b32 v9, v11, v9
	v_mul_f64 v[11:12], v[7:8], v[9:10]
.LBB55_29:                              ;   in Loop: Header=BB55_4 Depth=1
	s_or_b32 exec_lo, exec_lo, s2
	v_cmp_nlg_f64_e64 s30, 0x7ff00000, |v[5:6]|
	v_cmp_gt_f64_e32 vcc_lo, v[13:14], v[5:6]
	s_delay_alu instid0(VALU_DEP_3) | instskip(NEXT) | instid1(VALU_DEP_1)
	v_cmp_class_f64_e64 s2, v[11:12], 0x1f8
	s_and_saveexec_b32 s31, s2
	s_cbranch_execz .LBB55_2
; %bb.30:                               ;   in Loop: Header=BB55_4 Depth=1
	v_add_co_u32 v7, s2, s10, v16
	s_delay_alu instid0(VALU_DEP_1)
	v_add_co_ci_u32_e64 v8, s2, s11, v17, s2
	global_store_b128 v[7:8], v[1:4], off
	s_branch .LBB55_2
.LBB55_31:                              ;   in Loop: Header=BB55_4 Depth=1
	v_ashrrev_i32_e32 v23, 31, v22
	s_mov_b32 s33, 0
                                        ; implicit-def: $sgpr31
                                        ; implicit-def: $sgpr35
                                        ; implicit-def: $sgpr34
	s_delay_alu instid0(VALU_DEP_1) | instskip(NEXT) | instid1(VALU_DEP_1)
	v_lshlrev_b64 v[11:12], 2, v[22:23]
	v_add_co_u32 v11, vcc_lo, s6, v11
	s_delay_alu instid0(VALU_DEP_2)
	v_add_co_ci_u32_e32 v12, vcc_lo, s7, v12, vcc_lo
	s_set_inst_prefetch_distance 0x1
	s_branch .LBB55_33
	.p2align	6
.LBB55_32:                              ;   in Loop: Header=BB55_33 Depth=2
	s_or_b32 exec_lo, exec_lo, s36
	s_delay_alu instid0(SALU_CYCLE_1) | instskip(NEXT) | instid1(SALU_CYCLE_1)
	s_and_b32 s2, exec_lo, s35
	s_or_b32 s33, s2, s33
	s_and_not1_b32 s2, s31, exec_lo
	s_and_b32 s31, s34, exec_lo
	s_delay_alu instid0(SALU_CYCLE_1)
	s_or_b32 s31, s2, s31
	s_and_not1_b32 exec_lo, exec_lo, s33
	s_cbranch_execz .LBB55_35
.LBB55_33:                              ;   Parent Loop BB55_4 Depth=1
                                        ; =>  This Inner Loop Header: Depth=2
	global_load_b32 v19, v[11:12], off
	v_dual_mov_b32 v25, v23 :: v_dual_mov_b32 v24, v22
	s_or_b32 s34, s34, exec_lo
	s_or_b32 s35, s35, exec_lo
	s_mov_b32 s36, exec_lo
                                        ; implicit-def: $vgpr22_vgpr23
	s_waitcnt vmcnt(0)
	v_cmpx_ne_u32_e64 v19, v27
	s_cbranch_execz .LBB55_32
; %bb.34:                               ;   in Loop: Header=BB55_33 Depth=2
	v_add_co_u32 v22, vcc_lo, v24, 1
	v_add_co_ci_u32_e32 v23, vcc_lo, 0, v25, vcc_lo
	v_add_co_u32 v11, s2, v11, 4
	s_delay_alu instid0(VALU_DEP_3) | instskip(SKIP_4) | instid1(SALU_CYCLE_1)
	v_cmp_ge_i32_e32 vcc_lo, v22, v29
	v_add_co_ci_u32_e64 v12, s2, 0, v12, s2
	s_and_not1_b32 s2, s35, exec_lo
	s_and_not1_b32 s34, s34, exec_lo
	s_and_b32 s35, vcc_lo, exec_lo
	s_or_b32 s35, s2, s35
	s_branch .LBB55_32
.LBB55_35:                              ;   in Loop: Header=BB55_4 Depth=1
	s_set_inst_prefetch_distance 0x2
	s_or_b32 exec_lo, exec_lo, s33
	s_and_saveexec_b32 s2, s31
	s_delay_alu instid0(SALU_CYCLE_1)
	s_xor_b32 s2, exec_lo, s2
	s_cbranch_execz .LBB55_37
; %bb.36:                               ;   in Loop: Header=BB55_4 Depth=1
	v_lshlrev_b64 v[11:12], 2, v[24:25]
	s_delay_alu instid0(VALU_DEP_1) | instskip(NEXT) | instid1(VALU_DEP_2)
	v_add_co_u32 v11, vcc_lo, s8, v11
	v_add_co_ci_u32_e32 v12, vcc_lo, s9, v12, vcc_lo
	global_load_b32 v11, v[11:12], off
	s_waitcnt vmcnt(0)
	v_ashrrev_i32_e32 v12, 31, v11
	s_delay_alu instid0(VALU_DEP_1) | instskip(NEXT) | instid1(VALU_DEP_1)
	v_lshlrev_b64 v[11:12], 4, v[11:12]
	v_add_co_u32 v11, vcc_lo, s10, v11
	s_delay_alu instid0(VALU_DEP_2)
	v_add_co_ci_u32_e32 v12, vcc_lo, s11, v12, vcc_lo
	global_load_b128 v[22:25], v[11:12], off
	s_waitcnt vmcnt(0)
	v_add_f64 v[20:21], v[20:21], v[22:23]
	v_add_f64 v[9:10], v[9:10], v[24:25]
.LBB55_37:                              ;   in Loop: Header=BB55_4 Depth=1
	s_or_b32 exec_lo, exec_lo, s2
	s_delay_alu instid0(SALU_CYCLE_1) | instskip(NEXT) | instid1(SALU_CYCLE_1)
	s_or_b32 exec_lo, exec_lo, s30
	s_mov_b32 s30, exec_lo
	v_cmpx_lt_i32_e64 v18, v28
	s_cbranch_execz .LBB55_15
.LBB55_38:                              ;   in Loop: Header=BB55_4 Depth=1
	v_ashrrev_i32_e32 v19, 31, v18
	s_mov_b32 s33, 0
                                        ; implicit-def: $sgpr31
                                        ; implicit-def: $sgpr35
                                        ; implicit-def: $sgpr34
	s_delay_alu instid0(VALU_DEP_1) | instskip(NEXT) | instid1(VALU_DEP_1)
	v_lshlrev_b64 v[11:12], 2, v[18:19]
	v_add_co_u32 v11, vcc_lo, s16, v11
	s_delay_alu instid0(VALU_DEP_2)
	v_add_co_ci_u32_e32 v12, vcc_lo, s17, v12, vcc_lo
	s_set_inst_prefetch_distance 0x1
	s_branch .LBB55_40
	.p2align	6
.LBB55_39:                              ;   in Loop: Header=BB55_40 Depth=2
	s_or_b32 exec_lo, exec_lo, s36
	s_delay_alu instid0(SALU_CYCLE_1) | instskip(NEXT) | instid1(SALU_CYCLE_1)
	s_and_b32 s2, exec_lo, s35
	s_or_b32 s33, s2, s33
	s_and_not1_b32 s2, s31, exec_lo
	s_and_b32 s31, s34, exec_lo
	s_delay_alu instid0(SALU_CYCLE_1)
	s_or_b32 s31, s2, s31
	s_and_not1_b32 exec_lo, exec_lo, s33
	s_cbranch_execz .LBB55_42
.LBB55_40:                              ;   Parent Loop BB55_4 Depth=1
                                        ; =>  This Inner Loop Header: Depth=2
	global_load_b32 v24, v[11:12], off
	v_dual_mov_b32 v23, v19 :: v_dual_mov_b32 v22, v18
	s_or_b32 s34, s34, exec_lo
	s_or_b32 s35, s35, exec_lo
	s_mov_b32 s36, exec_lo
                                        ; implicit-def: $vgpr18_vgpr19
	s_waitcnt vmcnt(0)
	v_cmpx_ne_u32_e64 v24, v26
	s_cbranch_execz .LBB55_39
; %bb.41:                               ;   in Loop: Header=BB55_40 Depth=2
	v_add_co_u32 v18, vcc_lo, v22, 1
	v_add_co_ci_u32_e32 v19, vcc_lo, 0, v23, vcc_lo
	v_add_co_u32 v11, s2, v11, 4
	s_delay_alu instid0(VALU_DEP_3) | instskip(SKIP_4) | instid1(SALU_CYCLE_1)
	v_cmp_ge_i32_e32 vcc_lo, v18, v28
	v_add_co_ci_u32_e64 v12, s2, 0, v12, s2
	s_and_not1_b32 s2, s35, exec_lo
	s_and_not1_b32 s34, s34, exec_lo
	s_and_b32 s35, vcc_lo, exec_lo
	s_or_b32 s35, s2, s35
	s_branch .LBB55_39
.LBB55_42:                              ;   in Loop: Header=BB55_4 Depth=1
	s_set_inst_prefetch_distance 0x2
	s_or_b32 exec_lo, exec_lo, s33
	s_and_saveexec_b32 s2, s31
	s_delay_alu instid0(SALU_CYCLE_1)
	s_xor_b32 s2, exec_lo, s2
	s_cbranch_execz .LBB55_44
; %bb.43:                               ;   in Loop: Header=BB55_4 Depth=1
	v_lshlrev_b64 v[11:12], 4, v[22:23]
	s_delay_alu instid0(VALU_DEP_1) | instskip(NEXT) | instid1(VALU_DEP_2)
	v_add_co_u32 v11, vcc_lo, s10, v11
	v_add_co_ci_u32_e32 v12, vcc_lo, s11, v12, vcc_lo
	global_load_b128 v[22:25], v[11:12], off
	s_waitcnt vmcnt(0)
	v_fma_f64 v[11:12], v[22:23], v[5:6], v[20:21]
	v_fma_f64 v[9:10], v[24:25], v[5:6], v[9:10]
	s_delay_alu instid0(VALU_DEP_2) | instskip(NEXT) | instid1(VALU_DEP_2)
	v_fma_f64 v[20:21], -v[24:25], v[7:8], v[11:12]
	v_fma_f64 v[9:10], v[22:23], v[7:8], v[9:10]
.LBB55_44:                              ;   in Loop: Header=BB55_4 Depth=1
	s_or_b32 exec_lo, exec_lo, s2
	s_delay_alu instid0(SALU_CYCLE_1) | instskip(NEXT) | instid1(SALU_CYCLE_1)
	s_or_b32 exec_lo, exec_lo, s30
	s_mov_b32 s2, exec_lo
	v_cmpx_eq_u32_e64 v27, v26
	s_cbranch_execnz .LBB55_16
	s_branch .LBB55_17
.LBB55_45:
	s_or_b32 exec_lo, exec_lo, s26
	v_mbcnt_lo_u32_b32 v5, -1, 0
	s_delay_alu instid0(VALU_DEP_1) | instskip(SKIP_2) | instid1(VALU_DEP_3)
	v_or_b32_e32 v1, 32, v5
	v_xor_b32_e32 v3, 16, v5
	v_xor_b32_e32 v6, 8, v5
	v_cmp_gt_i32_e32 vcc_lo, 32, v1
	s_delay_alu instid0(VALU_DEP_3) | instskip(SKIP_1) | instid1(VALU_DEP_2)
	v_cmp_gt_i32_e64 s2, 32, v3
	v_cndmask_b32_e32 v1, v5, v1, vcc_lo
	v_cndmask_b32_e64 v3, v5, v3, s2
	v_cmp_gt_i32_e64 s2, 32, v6
	s_delay_alu instid0(VALU_DEP_3) | instskip(NEXT) | instid1(VALU_DEP_2)
	v_lshlrev_b32_e32 v2, 2, v1
	v_cndmask_b32_e64 v6, v5, v6, s2
	ds_bpermute_b32 v1, v2, v13
	ds_bpermute_b32 v2, v2, v14
	v_lshlrev_b32_e32 v6, 2, v6
	s_waitcnt lgkmcnt(0)
	v_cmp_lt_f64_e32 vcc_lo, v[13:14], v[1:2]
	v_dual_cndmask_b32 v2, v14, v2 :: v_dual_lshlrev_b32 v3, 2, v3
	v_cndmask_b32_e32 v1, v13, v1, vcc_lo
	ds_bpermute_b32 v4, v3, v2
	ds_bpermute_b32 v3, v3, v1
	s_waitcnt lgkmcnt(0)
	v_cmp_lt_f64_e32 vcc_lo, v[1:2], v[3:4]
	v_dual_cndmask_b32 v2, v2, v4 :: v_dual_cndmask_b32 v1, v1, v3
	ds_bpermute_b32 v4, v6, v2
	ds_bpermute_b32 v3, v6, v1
	v_xor_b32_e32 v6, 4, v5
	s_delay_alu instid0(VALU_DEP_1) | instskip(NEXT) | instid1(VALU_DEP_1)
	v_cmp_gt_i32_e64 s2, 32, v6
	v_cndmask_b32_e64 v6, v5, v6, s2
	s_waitcnt lgkmcnt(0)
	v_cmp_lt_f64_e32 vcc_lo, v[1:2], v[3:4]
	s_delay_alu instid0(VALU_DEP_2) | instskip(SKIP_4) | instid1(VALU_DEP_1)
	v_dual_cndmask_b32 v1, v1, v3 :: v_dual_lshlrev_b32 v6, 2, v6
	ds_bpermute_b32 v3, v6, v1
	v_cndmask_b32_e32 v2, v2, v4, vcc_lo
	ds_bpermute_b32 v4, v6, v2
	v_xor_b32_e32 v6, 2, v5
	v_cmp_gt_i32_e64 s2, 32, v6
	s_delay_alu instid0(VALU_DEP_1) | instskip(SKIP_2) | instid1(VALU_DEP_2)
	v_cndmask_b32_e64 v6, v5, v6, s2
	s_waitcnt lgkmcnt(0)
	v_cmp_lt_f64_e32 vcc_lo, v[1:2], v[3:4]
	v_dual_cndmask_b32 v1, v1, v3 :: v_dual_lshlrev_b32 v6, 2, v6
	v_cndmask_b32_e32 v2, v2, v4, vcc_lo
	ds_bpermute_b32 v3, v6, v1
	ds_bpermute_b32 v4, v6, v2
	v_xor_b32_e32 v6, 1, v5
	s_delay_alu instid0(VALU_DEP_1) | instskip(NEXT) | instid1(VALU_DEP_1)
	v_cmp_gt_i32_e64 s2, 32, v6
	v_cndmask_b32_e64 v5, v5, v6, s2
	s_mov_b32 s2, exec_lo
	s_delay_alu instid0(VALU_DEP_1)
	v_lshlrev_b32_e32 v5, 2, v5
	s_waitcnt lgkmcnt(0)
	v_cmp_lt_f64_e32 vcc_lo, v[1:2], v[3:4]
	v_dual_cndmask_b32 v2, v2, v4 :: v_dual_cndmask_b32 v1, v1, v3
	ds_bpermute_b32 v4, v5, v2
	ds_bpermute_b32 v3, v5, v1
	v_and_b32_e32 v5, 63, v0
	s_delay_alu instid0(VALU_DEP_1)
	v_cmpx_eq_u32_e32 63, v5
	s_cbranch_execz .LBB55_47
; %bb.46:
	s_waitcnt lgkmcnt(0)
	v_cmp_lt_f64_e32 vcc_lo, v[1:2], v[3:4]
	v_lshrrev_b32_e32 v5, 3, v0
	s_delay_alu instid0(VALU_DEP_1)
	v_dual_cndmask_b32 v2, v2, v4 :: v_dual_and_b32 v5, 0x78, v5
	v_cndmask_b32_e32 v1, v1, v3, vcc_lo
	ds_store_b64 v5, v[1:2]
.LBB55_47:
	s_or_b32 exec_lo, exec_lo, s2
	v_lshlrev_b32_e32 v1, 3, v0
	s_mov_b32 s2, exec_lo
	s_waitcnt lgkmcnt(0)
	s_waitcnt_vscnt null, 0x0
	s_barrier
	buffer_gl0_inv
	v_cmpx_gt_u32_e32 8, v0
	s_cbranch_execz .LBB55_49
; %bb.48:
	ds_load_2addr_b64 v[2:5], v1 offset1:8
	s_waitcnt lgkmcnt(0)
	v_cmp_lt_f64_e32 vcc_lo, v[2:3], v[4:5]
	v_dual_cndmask_b32 v3, v3, v5 :: v_dual_cndmask_b32 v2, v2, v4
	ds_store_b64 v1, v[2:3]
.LBB55_49:
	s_or_b32 exec_lo, exec_lo, s2
	s_delay_alu instid0(SALU_CYCLE_1)
	s_mov_b32 s2, exec_lo
	s_waitcnt lgkmcnt(0)
	s_barrier
	buffer_gl0_inv
	v_cmpx_gt_u32_e32 4, v0
	s_cbranch_execz .LBB55_51
; %bb.50:
	ds_load_2addr_b64 v[2:5], v1 offset1:4
	s_waitcnt lgkmcnt(0)
	v_cmp_lt_f64_e32 vcc_lo, v[2:3], v[4:5]
	v_dual_cndmask_b32 v3, v3, v5 :: v_dual_cndmask_b32 v2, v2, v4
	ds_store_b64 v1, v[2:3]
.LBB55_51:
	s_or_b32 exec_lo, exec_lo, s2
	s_delay_alu instid0(SALU_CYCLE_1)
	s_mov_b32 s2, exec_lo
	s_waitcnt lgkmcnt(0)
	s_barrier
	buffer_gl0_inv
	v_cmpx_gt_u32_e32 2, v0
	s_cbranch_execz .LBB55_53
; %bb.52:
	ds_load_2addr_b64 v[2:5], v1 offset1:2
	s_waitcnt lgkmcnt(0)
	v_cmp_lt_f64_e32 vcc_lo, v[2:3], v[4:5]
	v_dual_cndmask_b32 v3, v3, v5 :: v_dual_cndmask_b32 v2, v2, v4
	ds_store_b64 v1, v[2:3]
.LBB55_53:
	s_or_b32 exec_lo, exec_lo, s2
	v_cmp_eq_u32_e32 vcc_lo, 0, v0
	s_waitcnt lgkmcnt(0)
	s_barrier
	buffer_gl0_inv
	s_and_saveexec_b32 s3, vcc_lo
	s_cbranch_execz .LBB55_55
; %bb.54:
	v_mov_b32_e32 v4, 0
	ds_load_b128 v[0:3], v4
	s_waitcnt lgkmcnt(0)
	v_cmp_lt_f64_e64 s2, v[0:1], v[2:3]
	s_delay_alu instid0(VALU_DEP_1)
	v_cndmask_b32_e64 v1, v1, v3, s2
	v_cndmask_b32_e64 v0, v0, v2, s2
	ds_store_b64 v4, v[0:1]
.LBB55_55:
	s_or_b32 exec_lo, exec_lo, s3
	s_waitcnt lgkmcnt(0)
	s_barrier
	buffer_gl0_inv
	s_and_saveexec_b32 s2, vcc_lo
	s_cbranch_execz .LBB55_60
; %bb.56:
	s_load_b128 s[4:7], s[0:1], 0x68
	v_mov_b32_e32 v4, 0
	s_brev_b32 s3, 1
	s_mov_b32 s2, 0
	ds_load_b64 v[0:1], v4
	s_waitcnt lgkmcnt(0)
	s_load_b64 s[0:1], s[6:7], 0x0
	global_load_b64 v[2:3], v4, s[4:5] glc
	s_waitcnt lgkmcnt(0)
	v_div_scale_f64 v[5:6], null, s[0:1], s[0:1], v[0:1]
	s_delay_alu instid0(VALU_DEP_1) | instskip(SKIP_2) | instid1(VALU_DEP_1)
	v_rcp_f64_e32 v[7:8], v[5:6]
	s_waitcnt_depctr 0xfff
	v_fma_f64 v[9:10], -v[5:6], v[7:8], 1.0
	v_fma_f64 v[7:8], v[7:8], v[9:10], v[7:8]
	s_delay_alu instid0(VALU_DEP_1) | instskip(NEXT) | instid1(VALU_DEP_1)
	v_fma_f64 v[9:10], -v[5:6], v[7:8], 1.0
	v_fma_f64 v[7:8], v[7:8], v[9:10], v[7:8]
	v_div_scale_f64 v[9:10], vcc_lo, v[0:1], s[0:1], v[0:1]
	s_delay_alu instid0(VALU_DEP_1) | instskip(NEXT) | instid1(VALU_DEP_1)
	v_mul_f64 v[11:12], v[9:10], v[7:8]
	v_fma_f64 v[5:6], -v[5:6], v[11:12], v[9:10]
	s_waitcnt vmcnt(0)
	v_cmp_eq_u64_e64 s6, s[2:3], v[2:3]
                                        ; implicit-def: $sgpr3
	s_delay_alu instid0(VALU_DEP_2) | instskip(NEXT) | instid1(VALU_DEP_1)
	v_div_fmas_f64 v[5:6], v[5:6], v[7:8], v[11:12]
	v_div_fixup_f64 v[0:1], v[5:6], s[0:1], v[0:1]
                                        ; implicit-def: $sgpr1
	s_delay_alu instid0(VALU_DEP_1)
	v_cmp_eq_f64_e32 vcc_lo, 0, v[0:1]
	s_set_inst_prefetch_distance 0x1
	s_branch .LBB55_58
	.p2align	6
.LBB55_57:                              ;   in Loop: Header=BB55_58 Depth=1
	s_or_b32 exec_lo, exec_lo, s7
	s_delay_alu instid0(SALU_CYCLE_1) | instskip(NEXT) | instid1(SALU_CYCLE_1)
	s_and_b32 s0, exec_lo, s1
	s_or_b32 s2, s0, s2
	s_and_not1_b32 s0, s6, exec_lo
	s_and_b32 s6, s3, exec_lo
	s_delay_alu instid0(SALU_CYCLE_1)
	s_or_b32 s6, s0, s6
	s_and_not1_b32 exec_lo, exec_lo, s2
	s_cbranch_execz .LBB55_60
.LBB55_58:                              ; =>This Inner Loop Header: Depth=1
	v_cmp_lt_f64_e64 s0, v[2:3], v[0:1]
	s_and_b32 s7, vcc_lo, s6
	s_and_not1_b32 s3, s3, exec_lo
	s_or_b32 s1, s1, exec_lo
	s_delay_alu instid0(VALU_DEP_1) | instskip(NEXT) | instid1(SALU_CYCLE_1)
	s_or_b32 s0, s0, s7
	s_and_saveexec_b32 s7, s0
	s_cbranch_execz .LBB55_57
; %bb.59:                               ;   in Loop: Header=BB55_58 Depth=1
	global_atomic_cmpswap_b64 v[5:6], v4, v[0:3], s[4:5] glc
	s_and_not1_b32 s3, s3, exec_lo
	s_and_not1_b32 s1, s1, exec_lo
	s_waitcnt vmcnt(0)
	v_cmp_eq_u64_e64 s0, v[5:6], v[2:3]
	s_delay_alu instid0(VALU_DEP_1) | instskip(SKIP_2) | instid1(SALU_CYCLE_1)
	v_cndmask_b32_e64 v3, v6, v3, s0
	v_cndmask_b32_e64 v2, v5, v2, s0
	s_and_b32 s0, s0, exec_lo
	s_or_b32 s1, s1, s0
	s_delay_alu instid0(VALU_DEP_1) | instskip(SKIP_1) | instid1(VALU_DEP_2)
	v_cmp_class_f64_e64 s6, v[2:3], 32
	v_dual_mov_b32 v2, v5 :: v_dual_mov_b32 v3, v6
	s_and_b32 s6, s6, exec_lo
	s_delay_alu instid0(SALU_CYCLE_1)
	s_or_b32 s3, s3, s6
                                        ; implicit-def: $sgpr6
	s_branch .LBB55_57
.LBB55_60:
	s_set_inst_prefetch_distance 0x2
	s_endpgm
	.section	.rodata,"a",@progbits
	.p2align	6, 0x0
	.amdhsa_kernel _ZN9rocsparseL20kernel_calculate_cooILi1024ELi64ELb1E21rocsparse_complex_numIdEiiEEvT4_T3_PKS3_S6_PKT2_21rocsparse_index_base_PKS4_SC_S6_SC_SC_S6_SC_PS7_PNS_15floating_traitsIS7_E6data_tEPKSG_
		.amdhsa_group_segment_fixed_size 128
		.amdhsa_private_segment_fixed_size 0
		.amdhsa_kernarg_size 120
		.amdhsa_user_sgpr_count 15
		.amdhsa_user_sgpr_dispatch_ptr 0
		.amdhsa_user_sgpr_queue_ptr 0
		.amdhsa_user_sgpr_kernarg_segment_ptr 1
		.amdhsa_user_sgpr_dispatch_id 0
		.amdhsa_user_sgpr_private_segment_size 0
		.amdhsa_wavefront_size32 1
		.amdhsa_uses_dynamic_stack 0
		.amdhsa_enable_private_segment 0
		.amdhsa_system_sgpr_workgroup_id_x 1
		.amdhsa_system_sgpr_workgroup_id_y 0
		.amdhsa_system_sgpr_workgroup_id_z 0
		.amdhsa_system_sgpr_workgroup_info 0
		.amdhsa_system_vgpr_workitem_id 0
		.amdhsa_next_free_vgpr 40
		.amdhsa_next_free_sgpr 37
		.amdhsa_reserve_vcc 1
		.amdhsa_float_round_mode_32 0
		.amdhsa_float_round_mode_16_64 0
		.amdhsa_float_denorm_mode_32 3
		.amdhsa_float_denorm_mode_16_64 3
		.amdhsa_dx10_clamp 1
		.amdhsa_ieee_mode 1
		.amdhsa_fp16_overflow 0
		.amdhsa_workgroup_processor_mode 1
		.amdhsa_memory_ordered 1
		.amdhsa_forward_progress 0
		.amdhsa_shared_vgpr_count 0
		.amdhsa_exception_fp_ieee_invalid_op 0
		.amdhsa_exception_fp_denorm_src 0
		.amdhsa_exception_fp_ieee_div_zero 0
		.amdhsa_exception_fp_ieee_overflow 0
		.amdhsa_exception_fp_ieee_underflow 0
		.amdhsa_exception_fp_ieee_inexact 0
		.amdhsa_exception_int_div_zero 0
	.end_amdhsa_kernel
	.section	.text._ZN9rocsparseL20kernel_calculate_cooILi1024ELi64ELb1E21rocsparse_complex_numIdEiiEEvT4_T3_PKS3_S6_PKT2_21rocsparse_index_base_PKS4_SC_S6_SC_SC_S6_SC_PS7_PNS_15floating_traitsIS7_E6data_tEPKSG_,"axG",@progbits,_ZN9rocsparseL20kernel_calculate_cooILi1024ELi64ELb1E21rocsparse_complex_numIdEiiEEvT4_T3_PKS3_S6_PKT2_21rocsparse_index_base_PKS4_SC_S6_SC_SC_S6_SC_PS7_PNS_15floating_traitsIS7_E6data_tEPKSG_,comdat
.Lfunc_end55:
	.size	_ZN9rocsparseL20kernel_calculate_cooILi1024ELi64ELb1E21rocsparse_complex_numIdEiiEEvT4_T3_PKS3_S6_PKT2_21rocsparse_index_base_PKS4_SC_S6_SC_SC_S6_SC_PS7_PNS_15floating_traitsIS7_E6data_tEPKSG_, .Lfunc_end55-_ZN9rocsparseL20kernel_calculate_cooILi1024ELi64ELb1E21rocsparse_complex_numIdEiiEEvT4_T3_PKS3_S6_PKT2_21rocsparse_index_base_PKS4_SC_S6_SC_SC_S6_SC_PS7_PNS_15floating_traitsIS7_E6data_tEPKSG_
                                        ; -- End function
	.section	.AMDGPU.csdata,"",@progbits
; Kernel info:
; codeLenInByte = 4444
; NumSgprs: 39
; NumVgprs: 40
; ScratchSize: 0
; MemoryBound: 1
; FloatMode: 240
; IeeeMode: 1
; LDSByteSize: 128 bytes/workgroup (compile time only)
; SGPRBlocks: 4
; VGPRBlocks: 4
; NumSGPRsForWavesPerEU: 39
; NumVGPRsForWavesPerEU: 40
; Occupancy: 16
; WaveLimiterHint : 1
; COMPUTE_PGM_RSRC2:SCRATCH_EN: 0
; COMPUTE_PGM_RSRC2:USER_SGPR: 15
; COMPUTE_PGM_RSRC2:TRAP_HANDLER: 0
; COMPUTE_PGM_RSRC2:TGID_X_EN: 1
; COMPUTE_PGM_RSRC2:TGID_Y_EN: 0
; COMPUTE_PGM_RSRC2:TGID_Z_EN: 0
; COMPUTE_PGM_RSRC2:TIDIG_COMP_CNT: 0
	.section	.text._ZN9rocsparseL16kernel_calculateILi1024ELi1ELb1E21rocsparse_complex_numIdEiiEEvT4_T3_PKS4_S6_PKS3_PKT2_21rocsparse_index_base_S6_S6_S8_S6_S6_S8_S6_PS9_PNS_15floating_traitsIS9_E6data_tEPKSG_,"axG",@progbits,_ZN9rocsparseL16kernel_calculateILi1024ELi1ELb1E21rocsparse_complex_numIdEiiEEvT4_T3_PKS4_S6_PKS3_PKT2_21rocsparse_index_base_S6_S6_S8_S6_S6_S8_S6_PS9_PNS_15floating_traitsIS9_E6data_tEPKSG_,comdat
	.globl	_ZN9rocsparseL16kernel_calculateILi1024ELi1ELb1E21rocsparse_complex_numIdEiiEEvT4_T3_PKS4_S6_PKS3_PKT2_21rocsparse_index_base_S6_S6_S8_S6_S6_S8_S6_PS9_PNS_15floating_traitsIS9_E6data_tEPKSG_ ; -- Begin function _ZN9rocsparseL16kernel_calculateILi1024ELi1ELb1E21rocsparse_complex_numIdEiiEEvT4_T3_PKS4_S6_PKS3_PKT2_21rocsparse_index_base_S6_S6_S8_S6_S6_S8_S6_PS9_PNS_15floating_traitsIS9_E6data_tEPKSG_
	.p2align	8
	.type	_ZN9rocsparseL16kernel_calculateILi1024ELi1ELb1E21rocsparse_complex_numIdEiiEEvT4_T3_PKS4_S6_PKS3_PKT2_21rocsparse_index_base_S6_S6_S8_S6_S6_S8_S6_PS9_PNS_15floating_traitsIS9_E6data_tEPKSG_,@function
_ZN9rocsparseL16kernel_calculateILi1024ELi1ELb1E21rocsparse_complex_numIdEiiEEvT4_T3_PKS4_S6_PKS3_PKT2_21rocsparse_index_base_S6_S6_S8_S6_S6_S8_S6_PS9_PNS_15floating_traitsIS9_E6data_tEPKSG_: ; @_ZN9rocsparseL16kernel_calculateILi1024ELi1ELb1E21rocsparse_complex_numIdEiiEEvT4_T3_PKS4_S6_PKS3_PKT2_21rocsparse_index_base_S6_S6_S8_S6_S6_S8_S6_PS9_PNS_15floating_traitsIS9_E6data_tEPKSG_
; %bb.0:
	s_load_b32 s2, s[0:1], 0x0
	v_mov_b32_e32 v14, 0
	v_lshl_or_b32 v13, s15, 10, v0
	v_mov_b32_e32 v15, 0
	s_mov_b32 s24, exec_lo
	s_waitcnt lgkmcnt(0)
	s_delay_alu instid0(VALU_DEP_2)
	v_cmpx_gt_i32_e64 s2, v13
	s_cbranch_execz .LBB56_46
; %bb.1:
	s_load_b128 s[4:7], s[0:1], 0x8
	v_ashrrev_i32_e32 v14, 31, v13
	s_mov_b32 s25, exec_lo
	s_delay_alu instid0(VALU_DEP_1) | instskip(SKIP_3) | instid1(VALU_DEP_3)
	v_lshlrev_b64 v[1:2], 2, v[13:14]
	v_mov_b32_e32 v14, 0
	v_mov_b32_e32 v15, 0
	s_waitcnt lgkmcnt(0)
	v_add_co_u32 v3, vcc_lo, s6, v1
	s_delay_alu instid0(VALU_DEP_4)
	v_add_co_ci_u32_e32 v4, vcc_lo, s7, v2, vcc_lo
	v_add_co_u32 v5, vcc_lo, s4, v1
	v_add_co_ci_u32_e32 v6, vcc_lo, s5, v2, vcc_lo
	global_load_b32 v3, v[3:4], off
	global_load_b32 v4, v[5:6], off
	s_waitcnt vmcnt(0)
	v_cmpx_lt_i32_e64 v4, v3
	s_cbranch_execz .LBB56_45
; %bb.2:
	s_load_b256 s[4:11], s[0:1], 0x30
	v_mov_b32_e32 v16, 0
	v_mov_b32_e32 v17, 0
	s_delay_alu instid0(VALU_DEP_1)
	v_dual_mov_b32 v14, v16 :: v_dual_mov_b32 v15, v17
	s_waitcnt lgkmcnt(0)
	v_add_co_u32 v5, vcc_lo, s6, v1
	v_add_co_ci_u32_e32 v6, vcc_lo, s7, v2, vcc_lo
	v_add_co_u32 v1, vcc_lo, s4, v1
	v_add_co_ci_u32_e32 v2, vcc_lo, s5, v2, vcc_lo
	s_mov_b32 s5, 0
	global_load_b32 v5, v[5:6], off
	global_load_b32 v1, v[1:2], off
	s_clause 0x2
	s_load_b32 s4, s[0:1], 0x28
	s_load_b128 s[20:23], s[0:1], 0x18
	s_load_b256 s[12:19], s[0:1], 0x50
	s_waitcnt lgkmcnt(0)
	v_subrev_nc_u32_e32 v30, s4, v3
	v_subrev_nc_u32_e32 v18, s4, v4
	s_waitcnt vmcnt(1)
	v_subrev_nc_u32_e32 v31, s4, v5
	s_waitcnt vmcnt(0)
	v_subrev_nc_u32_e32 v32, s4, v1
	v_cmp_lt_i32_e64 s2, v1, v5
	s_branch .LBB56_4
.LBB56_3:                               ;   in Loop: Header=BB56_4 Depth=1
	s_or_b32 exec_lo, exec_lo, s3
	v_cmp_nlg_f64_e64 s26, 0x7ff00000, |v[5:6]|
	v_cmp_gt_f64_e32 vcc_lo, v[14:15], v[5:6]
	s_delay_alu instid0(VALU_DEP_2) | instskip(SKIP_2) | instid1(VALU_DEP_2)
	s_or_b32 vcc_lo, s26, vcc_lo
	v_dual_cndmask_b32 v15, v6, v15 :: v_dual_add_nc_u32 v18, 1, v18
	v_cndmask_b32_e32 v14, v5, v14, vcc_lo
	v_cmp_ge_i32_e64 s3, v18, v30
	s_delay_alu instid0(VALU_DEP_1) | instskip(NEXT) | instid1(SALU_CYCLE_1)
	s_or_b32 s5, s3, s5
	s_and_not1_b32 exec_lo, exec_lo, s5
	s_cbranch_execz .LBB56_44
.LBB56_4:                               ; =>This Loop Header: Depth=1
                                        ;     Child Loop BB56_7 Depth 2
                                        ;     Child Loop BB56_27 Depth 2
	;; [unrolled: 1-line block ×3, first 2 shown]
	v_ashrrev_i32_e32 v19, 31, v18
	v_dual_mov_b32 v25, v17 :: v_dual_mov_b32 v24, v16
	v_dual_mov_b32 v29, v17 :: v_dual_mov_b32 v28, v16
	s_delay_alu instid0(VALU_DEP_3) | instskip(SKIP_1) | instid1(VALU_DEP_2)
	v_lshlrev_b64 v[1:2], 2, v[18:19]
	v_lshlrev_b64 v[19:20], 4, v[18:19]
	v_add_co_u32 v1, vcc_lo, s20, v1
	s_delay_alu instid0(VALU_DEP_3) | instskip(SKIP_3) | instid1(VALU_DEP_1)
	v_add_co_ci_u32_e32 v2, vcc_lo, s21, v2, vcc_lo
	global_load_b32 v33, v[1:2], off
	s_waitcnt vmcnt(0)
	v_subrev_nc_u32_e32 v21, s4, v33
	v_ashrrev_i32_e32 v22, 31, v21
	s_delay_alu instid0(VALU_DEP_1) | instskip(NEXT) | instid1(VALU_DEP_1)
	v_lshlrev_b64 v[1:2], 2, v[21:22]
	v_add_co_u32 v3, vcc_lo, s6, v1
	s_delay_alu instid0(VALU_DEP_2)
	v_add_co_ci_u32_e32 v4, vcc_lo, s7, v2, vcc_lo
	v_add_co_u32 v5, vcc_lo, s12, v1
	v_add_co_ci_u32_e32 v6, vcc_lo, s13, v2, vcc_lo
	global_load_b32 v3, v[3:4], off
	v_add_co_u32 v1, vcc_lo, s10, v1
	v_add_co_ci_u32_e32 v2, vcc_lo, s11, v2, vcc_lo
	v_add_co_u32 v7, vcc_lo, s22, v19
	v_add_co_ci_u32_e32 v8, vcc_lo, s23, v20, vcc_lo
	global_load_b32 v22, v[5:6], off
	global_load_b32 v23, v[1:2], off
	s_waitcnt vmcnt(2)
	v_subrev_nc_u32_e32 v3, s4, v3
	s_delay_alu instid0(VALU_DEP_1)
	v_ashrrev_i32_e32 v4, 31, v3
	s_waitcnt vmcnt(1)
	v_subrev_nc_u32_e32 v34, s4, v22
	s_waitcnt vmcnt(0)
	v_subrev_nc_u32_e32 v26, s4, v23
	v_lshlrev_b64 v[3:4], 4, v[3:4]
	s_delay_alu instid0(VALU_DEP_1) | instskip(NEXT) | instid1(VALU_DEP_2)
	v_add_co_u32 v1, vcc_lo, s18, v3
	v_add_co_ci_u32_e32 v2, vcc_lo, s19, v4, vcc_lo
	v_cmp_lt_i32_e32 vcc_lo, v23, v22
	global_load_b128 v[9:12], v[7:8], off
	global_load_b128 v[5:8], v[1:2], off
	v_mov_b32_e32 v22, v32
	s_and_b32 s3, s2, vcc_lo
	s_delay_alu instid0(SALU_CYCLE_1)
	s_and_saveexec_b32 s26, s3
	s_cbranch_execz .LBB56_10
; %bb.5:                                ;   in Loop: Header=BB56_4 Depth=1
	v_mov_b32_e32 v24, 0
	v_dual_mov_b32 v25, 0 :: v_dual_mov_b32 v22, v32
	s_mov_b32 s27, 0
	s_delay_alu instid0(VALU_DEP_1)
	v_dual_mov_b32 v29, v25 :: v_dual_mov_b32 v28, v24
	s_branch .LBB56_7
.LBB56_6:                               ;   in Loop: Header=BB56_7 Depth=2
	s_or_b32 exec_lo, exec_lo, s3
	v_cmp_le_i32_e32 vcc_lo, v3, v4
	v_add_co_ci_u32_e32 v22, vcc_lo, 0, v22, vcc_lo
	v_cmp_ge_i32_e32 vcc_lo, v3, v4
	v_add_co_ci_u32_e32 v26, vcc_lo, 0, v26, vcc_lo
	s_delay_alu instid0(VALU_DEP_3) | instskip(NEXT) | instid1(VALU_DEP_2)
	v_cmp_ge_i32_e32 vcc_lo, v22, v31
	v_cmp_ge_i32_e64 s3, v26, v34
	s_delay_alu instid0(VALU_DEP_1) | instskip(NEXT) | instid1(SALU_CYCLE_1)
	s_or_b32 s3, vcc_lo, s3
	s_and_b32 s3, exec_lo, s3
	s_delay_alu instid0(SALU_CYCLE_1) | instskip(NEXT) | instid1(SALU_CYCLE_1)
	s_or_b32 s27, s3, s27
	s_and_not1_b32 exec_lo, exec_lo, s27
	s_cbranch_execz .LBB56_9
.LBB56_7:                               ;   Parent Loop BB56_4 Depth=1
                                        ; =>  This Inner Loop Header: Depth=2
	s_delay_alu instid0(VALU_DEP_2) | instskip(SKIP_2) | instid1(VALU_DEP_2)
	v_ashrrev_i32_e32 v23, 31, v22
	v_ashrrev_i32_e32 v27, 31, v26
	s_mov_b32 s3, exec_lo
	v_lshlrev_b64 v[3:4], 2, v[22:23]
	s_delay_alu instid0(VALU_DEP_2) | instskip(NEXT) | instid1(VALU_DEP_2)
	v_lshlrev_b64 v[1:2], 2, v[26:27]
	v_add_co_u32 v3, vcc_lo, s8, v3
	s_delay_alu instid0(VALU_DEP_3) | instskip(NEXT) | instid1(VALU_DEP_3)
	v_add_co_ci_u32_e32 v4, vcc_lo, s9, v4, vcc_lo
	v_add_co_u32 v35, vcc_lo, s14, v1
	s_delay_alu instid0(VALU_DEP_4)
	v_add_co_ci_u32_e32 v36, vcc_lo, s15, v2, vcc_lo
	global_load_b32 v3, v[3:4], off
	global_load_b32 v4, v[35:36], off
	s_waitcnt vmcnt(0)
	v_cmpx_eq_u32_e64 v3, v4
	s_cbranch_execz .LBB56_6
; %bb.8:                                ;   in Loop: Header=BB56_7 Depth=2
	v_add_co_u32 v1, vcc_lo, s16, v1
	v_add_co_ci_u32_e32 v2, vcc_lo, s17, v2, vcc_lo
	v_lshlrev_b64 v[35:36], 4, v[22:23]
	global_load_b32 v1, v[1:2], off
	v_add_co_u32 v35, vcc_lo, s18, v35
	v_add_co_ci_u32_e32 v36, vcc_lo, s19, v36, vcc_lo
	s_waitcnt vmcnt(0)
	v_ashrrev_i32_e32 v2, 31, v1
	s_delay_alu instid0(VALU_DEP_1) | instskip(NEXT) | instid1(VALU_DEP_1)
	v_lshlrev_b64 v[1:2], 4, v[1:2]
	v_add_co_u32 v1, vcc_lo, s18, v1
	s_delay_alu instid0(VALU_DEP_2)
	v_add_co_ci_u32_e32 v2, vcc_lo, s19, v2, vcc_lo
	s_clause 0x1
	global_load_b128 v[35:38], v[35:36], off
	global_load_b128 v[39:42], v[1:2], off
	s_waitcnt vmcnt(0)
	v_fma_f64 v[1:2], v[35:36], v[39:40], v[24:25]
	v_fma_f64 v[27:28], v[37:38], v[39:40], v[28:29]
	s_delay_alu instid0(VALU_DEP_2) | instskip(NEXT) | instid1(VALU_DEP_2)
	v_fma_f64 v[24:25], -v[37:38], v[41:42], v[1:2]
	v_fma_f64 v[28:29], v[35:36], v[41:42], v[27:28]
	s_branch .LBB56_6
.LBB56_9:                               ;   in Loop: Header=BB56_4 Depth=1
	s_or_b32 exec_lo, exec_lo, s27
.LBB56_10:                              ;   in Loop: Header=BB56_4 Depth=1
	s_delay_alu instid0(SALU_CYCLE_1)
	s_or_b32 exec_lo, exec_lo, s26
	s_waitcnt vmcnt(1)
	v_add_f64 v[1:2], v[9:10], -v[24:25]
	v_add_f64 v[3:4], v[11:12], -v[28:29]
	s_mov_b32 s3, exec_lo
	v_cmpx_gt_i32_e64 v13, v21
	s_cbranch_execz .LBB56_12
; %bb.11:                               ;   in Loop: Header=BB56_4 Depth=1
	s_waitcnt vmcnt(0)
	v_mul_f64 v[35:36], v[7:8], v[7:8]
	s_delay_alu instid0(VALU_DEP_1) | instskip(NEXT) | instid1(VALU_DEP_1)
	v_fma_f64 v[35:36], v[5:6], v[5:6], v[35:36]
	v_div_scale_f64 v[37:38], null, v[35:36], v[35:36], 1.0
	v_div_scale_f64 v[43:44], vcc_lo, 1.0, v[35:36], 1.0
	s_delay_alu instid0(VALU_DEP_2) | instskip(SKIP_2) | instid1(VALU_DEP_1)
	v_rcp_f64_e32 v[39:40], v[37:38]
	s_waitcnt_depctr 0xfff
	v_fma_f64 v[41:42], -v[37:38], v[39:40], 1.0
	v_fma_f64 v[39:40], v[39:40], v[41:42], v[39:40]
	s_delay_alu instid0(VALU_DEP_1) | instskip(NEXT) | instid1(VALU_DEP_1)
	v_fma_f64 v[41:42], -v[37:38], v[39:40], 1.0
	v_fma_f64 v[39:40], v[39:40], v[41:42], v[39:40]
	s_delay_alu instid0(VALU_DEP_1) | instskip(NEXT) | instid1(VALU_DEP_1)
	v_mul_f64 v[41:42], v[43:44], v[39:40]
	v_fma_f64 v[37:38], -v[37:38], v[41:42], v[43:44]
	s_delay_alu instid0(VALU_DEP_1) | instskip(SKIP_2) | instid1(VALU_DEP_3)
	v_div_fmas_f64 v[37:38], v[37:38], v[39:40], v[41:42]
	v_mul_f64 v[39:40], v[7:8], v[3:4]
	v_mul_f64 v[41:42], v[7:8], -v[1:2]
	v_div_fixup_f64 v[35:36], v[37:38], v[35:36], 1.0
	s_delay_alu instid0(VALU_DEP_3) | instskip(NEXT) | instid1(VALU_DEP_3)
	v_fma_f64 v[1:2], v[1:2], v[5:6], v[39:40]
	v_fma_f64 v[3:4], v[3:4], v[5:6], v[41:42]
	s_delay_alu instid0(VALU_DEP_2) | instskip(NEXT) | instid1(VALU_DEP_2)
	v_mul_f64 v[1:2], v[35:36], v[1:2]
	v_mul_f64 v[3:4], v[35:36], v[3:4]
.LBB56_12:                              ;   in Loop: Header=BB56_4 Depth=1
	s_or_b32 exec_lo, exec_lo, s3
	v_add_f64 v[24:25], v[24:25], -v[9:10]
	v_add_f64 v[9:10], v[28:29], -v[11:12]
	s_mov_b32 s26, exec_lo
	v_cmpx_lt_i32_e64 v26, v34
	s_cbranch_execnz .LBB56_25
; %bb.13:                               ;   in Loop: Header=BB56_4 Depth=1
	s_or_b32 exec_lo, exec_lo, s26
	s_delay_alu instid0(SALU_CYCLE_1)
	s_mov_b32 s26, exec_lo
	v_cmpx_lt_i32_e64 v22, v31
	s_cbranch_execnz .LBB56_37
.LBB56_14:                              ;   in Loop: Header=BB56_4 Depth=1
	s_or_b32 exec_lo, exec_lo, s26
	s_delay_alu instid0(SALU_CYCLE_1)
	s_mov_b32 s3, exec_lo
	v_cmpx_eq_u32_e64 v13, v21
	s_cbranch_execz .LBB56_16
.LBB56_15:                              ;   in Loop: Header=BB56_4 Depth=1
	s_waitcnt vmcnt(0)
	s_delay_alu instid0(VALU_DEP_3) | instskip(NEXT) | instid1(VALU_DEP_3)
	v_add_f64 v[24:25], v[5:6], v[24:25]
	v_add_f64 v[9:10], v[7:8], v[9:10]
.LBB56_16:                              ;   in Loop: Header=BB56_4 Depth=1
	s_or_b32 exec_lo, exec_lo, s3
	s_delay_alu instid0(VALU_DEP_2) | instskip(NEXT) | instid1(VALU_DEP_2)
	v_cmp_gt_f64_e32 vcc_lo, 0, v[24:25]
	v_cmp_gt_f64_e64 s3, 0, v[9:10]
	s_waitcnt vmcnt(0)
	v_xor_b32_e32 v5, 0x80000000, v25
	v_xor_b32_e32 v6, 0x80000000, v10
	s_delay_alu instid0(VALU_DEP_2) | instskip(NEXT) | instid1(VALU_DEP_2)
	v_dual_cndmask_b32 v8, v25, v5 :: v_dual_cndmask_b32 v7, v24, v24
	v_cndmask_b32_e64 v12, v10, v6, s3
	v_cndmask_b32_e64 v11, v9, v9, s3
	s_mov_b32 s3, exec_lo
                                        ; implicit-def: $vgpr5_vgpr6
	s_delay_alu instid0(VALU_DEP_1)
	v_cmpx_ngt_f64_e32 v[7:8], v[11:12]
	s_xor_b32 s3, exec_lo, s3
	s_cbranch_execz .LBB56_20
; %bb.17:                               ;   in Loop: Header=BB56_4 Depth=1
	v_mov_b32_e32 v5, 0
	v_mov_b32_e32 v6, 0
	s_mov_b32 s26, exec_lo
	v_cmpx_neq_f64_e32 0, v[9:10]
	s_cbranch_execz .LBB56_19
; %bb.18:                               ;   in Loop: Header=BB56_4 Depth=1
	v_div_scale_f64 v[5:6], null, v[11:12], v[11:12], v[7:8]
	v_div_scale_f64 v[23:24], vcc_lo, v[7:8], v[11:12], v[7:8]
	s_delay_alu instid0(VALU_DEP_2) | instskip(SKIP_2) | instid1(VALU_DEP_1)
	v_rcp_f64_e32 v[9:10], v[5:6]
	s_waitcnt_depctr 0xfff
	v_fma_f64 v[21:22], -v[5:6], v[9:10], 1.0
	v_fma_f64 v[9:10], v[9:10], v[21:22], v[9:10]
	s_delay_alu instid0(VALU_DEP_1) | instskip(NEXT) | instid1(VALU_DEP_1)
	v_fma_f64 v[21:22], -v[5:6], v[9:10], 1.0
	v_fma_f64 v[9:10], v[9:10], v[21:22], v[9:10]
	s_delay_alu instid0(VALU_DEP_1) | instskip(NEXT) | instid1(VALU_DEP_1)
	v_mul_f64 v[21:22], v[23:24], v[9:10]
	v_fma_f64 v[5:6], -v[5:6], v[21:22], v[23:24]
	s_delay_alu instid0(VALU_DEP_1) | instskip(NEXT) | instid1(VALU_DEP_1)
	v_div_fmas_f64 v[5:6], v[5:6], v[9:10], v[21:22]
	v_div_fixup_f64 v[5:6], v[5:6], v[11:12], v[7:8]
	s_delay_alu instid0(VALU_DEP_1) | instskip(NEXT) | instid1(VALU_DEP_1)
	v_fma_f64 v[5:6], v[5:6], v[5:6], 1.0
	v_cmp_gt_f64_e32 vcc_lo, 0x10000000, v[5:6]
	v_cndmask_b32_e64 v7, 0, 1, vcc_lo
	s_delay_alu instid0(VALU_DEP_1) | instskip(NEXT) | instid1(VALU_DEP_1)
	v_lshlrev_b32_e32 v7, 8, v7
	v_ldexp_f64 v[5:6], v[5:6], v7
	s_delay_alu instid0(VALU_DEP_1) | instskip(SKIP_3) | instid1(VALU_DEP_1)
	v_rsq_f64_e32 v[7:8], v[5:6]
	s_waitcnt_depctr 0xfff
	v_mul_f64 v[9:10], v[5:6], v[7:8]
	v_mul_f64 v[7:8], v[7:8], 0.5
	v_fma_f64 v[21:22], -v[7:8], v[9:10], 0.5
	s_delay_alu instid0(VALU_DEP_1) | instskip(SKIP_1) | instid1(VALU_DEP_2)
	v_fma_f64 v[9:10], v[9:10], v[21:22], v[9:10]
	v_fma_f64 v[7:8], v[7:8], v[21:22], v[7:8]
	v_fma_f64 v[21:22], -v[9:10], v[9:10], v[5:6]
	s_delay_alu instid0(VALU_DEP_1) | instskip(NEXT) | instid1(VALU_DEP_1)
	v_fma_f64 v[9:10], v[21:22], v[7:8], v[9:10]
	v_fma_f64 v[21:22], -v[9:10], v[9:10], v[5:6]
	s_delay_alu instid0(VALU_DEP_1) | instskip(SKIP_2) | instid1(VALU_DEP_2)
	v_fma_f64 v[7:8], v[21:22], v[7:8], v[9:10]
	v_cndmask_b32_e64 v9, 0, 0xffffff80, vcc_lo
	v_cmp_class_f64_e64 vcc_lo, v[5:6], 0x260
	v_ldexp_f64 v[7:8], v[7:8], v9
	s_delay_alu instid0(VALU_DEP_1) | instskip(NEXT) | instid1(VALU_DEP_1)
	v_dual_cndmask_b32 v6, v8, v6 :: v_dual_cndmask_b32 v5, v7, v5
	v_mul_f64 v[5:6], v[11:12], v[5:6]
.LBB56_19:                              ;   in Loop: Header=BB56_4 Depth=1
	s_or_b32 exec_lo, exec_lo, s26
                                        ; implicit-def: $vgpr7_vgpr8
                                        ; implicit-def: $vgpr11_vgpr12
.LBB56_20:                              ;   in Loop: Header=BB56_4 Depth=1
	s_and_not1_saveexec_b32 s3, s3
	s_cbranch_execz .LBB56_22
; %bb.21:                               ;   in Loop: Header=BB56_4 Depth=1
	v_div_scale_f64 v[5:6], null, v[7:8], v[7:8], v[11:12]
	v_div_scale_f64 v[23:24], vcc_lo, v[11:12], v[7:8], v[11:12]
	s_delay_alu instid0(VALU_DEP_2) | instskip(SKIP_2) | instid1(VALU_DEP_1)
	v_rcp_f64_e32 v[9:10], v[5:6]
	s_waitcnt_depctr 0xfff
	v_fma_f64 v[21:22], -v[5:6], v[9:10], 1.0
	v_fma_f64 v[9:10], v[9:10], v[21:22], v[9:10]
	s_delay_alu instid0(VALU_DEP_1) | instskip(NEXT) | instid1(VALU_DEP_1)
	v_fma_f64 v[21:22], -v[5:6], v[9:10], 1.0
	v_fma_f64 v[9:10], v[9:10], v[21:22], v[9:10]
	s_delay_alu instid0(VALU_DEP_1) | instskip(NEXT) | instid1(VALU_DEP_1)
	v_mul_f64 v[21:22], v[23:24], v[9:10]
	v_fma_f64 v[5:6], -v[5:6], v[21:22], v[23:24]
	s_delay_alu instid0(VALU_DEP_1) | instskip(NEXT) | instid1(VALU_DEP_1)
	v_div_fmas_f64 v[5:6], v[5:6], v[9:10], v[21:22]
	v_div_fixup_f64 v[5:6], v[5:6], v[7:8], v[11:12]
	s_delay_alu instid0(VALU_DEP_1) | instskip(NEXT) | instid1(VALU_DEP_1)
	v_fma_f64 v[5:6], v[5:6], v[5:6], 1.0
	v_cmp_gt_f64_e32 vcc_lo, 0x10000000, v[5:6]
	v_cndmask_b32_e64 v9, 0, 1, vcc_lo
	s_delay_alu instid0(VALU_DEP_1) | instskip(NEXT) | instid1(VALU_DEP_1)
	v_lshlrev_b32_e32 v9, 8, v9
	v_ldexp_f64 v[5:6], v[5:6], v9
	s_delay_alu instid0(VALU_DEP_1) | instskip(SKIP_3) | instid1(VALU_DEP_1)
	v_rsq_f64_e32 v[9:10], v[5:6]
	s_waitcnt_depctr 0xfff
	v_mul_f64 v[11:12], v[5:6], v[9:10]
	v_mul_f64 v[9:10], v[9:10], 0.5
	v_fma_f64 v[21:22], -v[9:10], v[11:12], 0.5
	s_delay_alu instid0(VALU_DEP_1) | instskip(SKIP_1) | instid1(VALU_DEP_2)
	v_fma_f64 v[11:12], v[11:12], v[21:22], v[11:12]
	v_fma_f64 v[9:10], v[9:10], v[21:22], v[9:10]
	v_fma_f64 v[21:22], -v[11:12], v[11:12], v[5:6]
	s_delay_alu instid0(VALU_DEP_1) | instskip(NEXT) | instid1(VALU_DEP_1)
	v_fma_f64 v[11:12], v[21:22], v[9:10], v[11:12]
	v_fma_f64 v[21:22], -v[11:12], v[11:12], v[5:6]
	s_delay_alu instid0(VALU_DEP_1) | instskip(SKIP_2) | instid1(VALU_DEP_2)
	v_fma_f64 v[9:10], v[21:22], v[9:10], v[11:12]
	v_cndmask_b32_e64 v11, 0, 0xffffff80, vcc_lo
	v_cmp_class_f64_e64 vcc_lo, v[5:6], 0x260
	v_ldexp_f64 v[9:10], v[9:10], v11
	s_delay_alu instid0(VALU_DEP_1) | instskip(NEXT) | instid1(VALU_DEP_1)
	v_dual_cndmask_b32 v6, v10, v6 :: v_dual_cndmask_b32 v5, v9, v5
	v_mul_f64 v[5:6], v[7:8], v[5:6]
.LBB56_22:                              ;   in Loop: Header=BB56_4 Depth=1
	s_or_b32 exec_lo, exec_lo, s3
	v_cmp_gt_f64_e32 vcc_lo, 0, v[1:2]
	v_cmp_gt_f64_e64 s3, 0, v[3:4]
	v_xor_b32_e32 v7, 0x80000000, v2
	v_xor_b32_e32 v9, 0x80000000, v4
                                        ; implicit-def: $vgpr11_vgpr12
	s_delay_alu instid0(VALU_DEP_2) | instskip(NEXT) | instid1(VALU_DEP_2)
	v_dual_cndmask_b32 v8, v2, v7 :: v_dual_cndmask_b32 v7, v1, v1
	v_cndmask_b32_e64 v10, v4, v9, s3
	v_cndmask_b32_e64 v9, v3, v3, s3
	s_mov_b32 s3, exec_lo
	s_delay_alu instid0(VALU_DEP_1)
	v_cmpx_ngt_f64_e32 v[7:8], v[9:10]
	s_xor_b32 s3, exec_lo, s3
	s_cbranch_execnz .LBB56_29
; %bb.23:                               ;   in Loop: Header=BB56_4 Depth=1
	s_and_not1_saveexec_b32 s3, s3
	s_cbranch_execnz .LBB56_32
.LBB56_24:                              ;   in Loop: Header=BB56_4 Depth=1
	s_or_b32 exec_lo, exec_lo, s3
	s_delay_alu instid0(VALU_DEP_1) | instskip(NEXT) | instid1(VALU_DEP_1)
	v_cmp_class_f64_e64 s26, v[11:12], 0x1f8
	s_and_saveexec_b32 s3, s26
	s_cbranch_execz .LBB56_3
	s_branch .LBB56_33
.LBB56_25:                              ;   in Loop: Header=BB56_4 Depth=1
	v_ashrrev_i32_e32 v27, 31, v26
	s_mov_b32 s28, 0
                                        ; implicit-def: $sgpr27
                                        ; implicit-def: $sgpr30
                                        ; implicit-def: $sgpr29
	s_delay_alu instid0(VALU_DEP_1) | instskip(NEXT) | instid1(VALU_DEP_1)
	v_lshlrev_b64 v[11:12], 2, v[26:27]
	v_add_co_u32 v11, vcc_lo, s14, v11
	s_delay_alu instid0(VALU_DEP_2)
	v_add_co_ci_u32_e32 v12, vcc_lo, s15, v12, vcc_lo
	s_set_inst_prefetch_distance 0x1
	s_branch .LBB56_27
	.p2align	6
.LBB56_26:                              ;   in Loop: Header=BB56_27 Depth=2
	s_or_b32 exec_lo, exec_lo, s31
	s_delay_alu instid0(SALU_CYCLE_1) | instskip(NEXT) | instid1(SALU_CYCLE_1)
	s_and_b32 s3, exec_lo, s30
	s_or_b32 s28, s3, s28
	s_and_not1_b32 s3, s27, exec_lo
	s_and_b32 s27, s29, exec_lo
	s_delay_alu instid0(SALU_CYCLE_1)
	s_or_b32 s27, s3, s27
	s_and_not1_b32 exec_lo, exec_lo, s28
	s_cbranch_execz .LBB56_34
.LBB56_27:                              ;   Parent Loop BB56_4 Depth=1
                                        ; =>  This Inner Loop Header: Depth=2
	global_load_b32 v23, v[11:12], off
	v_dual_mov_b32 v29, v27 :: v_dual_mov_b32 v28, v26
	s_or_b32 s29, s29, exec_lo
	s_or_b32 s30, s30, exec_lo
	s_mov_b32 s31, exec_lo
                                        ; implicit-def: $vgpr26_vgpr27
	s_waitcnt vmcnt(0)
	v_subrev_nc_u32_e32 v23, s4, v23
	s_delay_alu instid0(VALU_DEP_1)
	v_cmpx_ne_u32_e64 v23, v13
	s_cbranch_execz .LBB56_26
; %bb.28:                               ;   in Loop: Header=BB56_27 Depth=2
	v_add_co_u32 v26, vcc_lo, v28, 1
	v_add_co_ci_u32_e32 v27, vcc_lo, 0, v29, vcc_lo
	v_add_co_u32 v11, s3, v11, 4
	s_delay_alu instid0(VALU_DEP_3) | instskip(SKIP_4) | instid1(SALU_CYCLE_1)
	v_cmp_ge_i32_e32 vcc_lo, v26, v34
	v_add_co_ci_u32_e64 v12, s3, 0, v12, s3
	s_and_not1_b32 s3, s30, exec_lo
	s_and_not1_b32 s29, s29, exec_lo
	s_and_b32 s30, vcc_lo, exec_lo
	s_or_b32 s30, s3, s30
	s_branch .LBB56_26
.LBB56_29:                              ;   in Loop: Header=BB56_4 Depth=1
	v_mov_b32_e32 v11, 0
	v_mov_b32_e32 v12, 0
	s_mov_b32 s26, exec_lo
	v_cmpx_neq_f64_e32 0, v[3:4]
	s_cbranch_execz .LBB56_31
; %bb.30:                               ;   in Loop: Header=BB56_4 Depth=1
	v_div_scale_f64 v[11:12], null, v[9:10], v[9:10], v[7:8]
	v_div_scale_f64 v[25:26], vcc_lo, v[7:8], v[9:10], v[7:8]
	s_delay_alu instid0(VALU_DEP_2) | instskip(SKIP_2) | instid1(VALU_DEP_1)
	v_rcp_f64_e32 v[21:22], v[11:12]
	s_waitcnt_depctr 0xfff
	v_fma_f64 v[23:24], -v[11:12], v[21:22], 1.0
	v_fma_f64 v[21:22], v[21:22], v[23:24], v[21:22]
	s_delay_alu instid0(VALU_DEP_1) | instskip(NEXT) | instid1(VALU_DEP_1)
	v_fma_f64 v[23:24], -v[11:12], v[21:22], 1.0
	v_fma_f64 v[21:22], v[21:22], v[23:24], v[21:22]
	s_delay_alu instid0(VALU_DEP_1) | instskip(NEXT) | instid1(VALU_DEP_1)
	v_mul_f64 v[23:24], v[25:26], v[21:22]
	v_fma_f64 v[11:12], -v[11:12], v[23:24], v[25:26]
	s_delay_alu instid0(VALU_DEP_1) | instskip(NEXT) | instid1(VALU_DEP_1)
	v_div_fmas_f64 v[11:12], v[11:12], v[21:22], v[23:24]
	v_div_fixup_f64 v[7:8], v[11:12], v[9:10], v[7:8]
	s_delay_alu instid0(VALU_DEP_1) | instskip(NEXT) | instid1(VALU_DEP_1)
	v_fma_f64 v[7:8], v[7:8], v[7:8], 1.0
	v_cmp_gt_f64_e32 vcc_lo, 0x10000000, v[7:8]
	v_cndmask_b32_e64 v11, 0, 1, vcc_lo
	s_delay_alu instid0(VALU_DEP_1) | instskip(NEXT) | instid1(VALU_DEP_1)
	v_lshlrev_b32_e32 v11, 8, v11
	v_ldexp_f64 v[7:8], v[7:8], v11
	s_delay_alu instid0(VALU_DEP_1) | instskip(SKIP_3) | instid1(VALU_DEP_1)
	v_rsq_f64_e32 v[11:12], v[7:8]
	s_waitcnt_depctr 0xfff
	v_mul_f64 v[21:22], v[7:8], v[11:12]
	v_mul_f64 v[11:12], v[11:12], 0.5
	v_fma_f64 v[23:24], -v[11:12], v[21:22], 0.5
	s_delay_alu instid0(VALU_DEP_1) | instskip(SKIP_1) | instid1(VALU_DEP_2)
	v_fma_f64 v[21:22], v[21:22], v[23:24], v[21:22]
	v_fma_f64 v[11:12], v[11:12], v[23:24], v[11:12]
	v_fma_f64 v[23:24], -v[21:22], v[21:22], v[7:8]
	s_delay_alu instid0(VALU_DEP_1) | instskip(NEXT) | instid1(VALU_DEP_1)
	v_fma_f64 v[21:22], v[23:24], v[11:12], v[21:22]
	v_fma_f64 v[23:24], -v[21:22], v[21:22], v[7:8]
	s_delay_alu instid0(VALU_DEP_1) | instskip(SKIP_2) | instid1(VALU_DEP_2)
	v_fma_f64 v[11:12], v[23:24], v[11:12], v[21:22]
	v_cndmask_b32_e64 v21, 0, 0xffffff80, vcc_lo
	v_cmp_class_f64_e64 vcc_lo, v[7:8], 0x260
	v_ldexp_f64 v[11:12], v[11:12], v21
	s_delay_alu instid0(VALU_DEP_1) | instskip(NEXT) | instid1(VALU_DEP_1)
	v_dual_cndmask_b32 v8, v12, v8 :: v_dual_cndmask_b32 v7, v11, v7
	v_mul_f64 v[11:12], v[9:10], v[7:8]
.LBB56_31:                              ;   in Loop: Header=BB56_4 Depth=1
	s_or_b32 exec_lo, exec_lo, s26
                                        ; implicit-def: $vgpr7_vgpr8
                                        ; implicit-def: $vgpr9_vgpr10
	s_and_not1_saveexec_b32 s3, s3
	s_cbranch_execz .LBB56_24
.LBB56_32:                              ;   in Loop: Header=BB56_4 Depth=1
	v_div_scale_f64 v[11:12], null, v[7:8], v[7:8], v[9:10]
	v_div_scale_f64 v[25:26], vcc_lo, v[9:10], v[7:8], v[9:10]
	s_delay_alu instid0(VALU_DEP_2) | instskip(SKIP_2) | instid1(VALU_DEP_1)
	v_rcp_f64_e32 v[21:22], v[11:12]
	s_waitcnt_depctr 0xfff
	v_fma_f64 v[23:24], -v[11:12], v[21:22], 1.0
	v_fma_f64 v[21:22], v[21:22], v[23:24], v[21:22]
	s_delay_alu instid0(VALU_DEP_1) | instskip(NEXT) | instid1(VALU_DEP_1)
	v_fma_f64 v[23:24], -v[11:12], v[21:22], 1.0
	v_fma_f64 v[21:22], v[21:22], v[23:24], v[21:22]
	s_delay_alu instid0(VALU_DEP_1) | instskip(NEXT) | instid1(VALU_DEP_1)
	v_mul_f64 v[23:24], v[25:26], v[21:22]
	v_fma_f64 v[11:12], -v[11:12], v[23:24], v[25:26]
	s_delay_alu instid0(VALU_DEP_1) | instskip(NEXT) | instid1(VALU_DEP_1)
	v_div_fmas_f64 v[11:12], v[11:12], v[21:22], v[23:24]
	v_div_fixup_f64 v[9:10], v[11:12], v[7:8], v[9:10]
	s_delay_alu instid0(VALU_DEP_1) | instskip(NEXT) | instid1(VALU_DEP_1)
	v_fma_f64 v[9:10], v[9:10], v[9:10], 1.0
	v_cmp_gt_f64_e32 vcc_lo, 0x10000000, v[9:10]
	v_cndmask_b32_e64 v11, 0, 1, vcc_lo
	s_delay_alu instid0(VALU_DEP_1) | instskip(NEXT) | instid1(VALU_DEP_1)
	v_lshlrev_b32_e32 v11, 8, v11
	v_ldexp_f64 v[9:10], v[9:10], v11
	s_delay_alu instid0(VALU_DEP_1) | instskip(SKIP_3) | instid1(VALU_DEP_1)
	v_rsq_f64_e32 v[11:12], v[9:10]
	s_waitcnt_depctr 0xfff
	v_mul_f64 v[21:22], v[9:10], v[11:12]
	v_mul_f64 v[11:12], v[11:12], 0.5
	v_fma_f64 v[23:24], -v[11:12], v[21:22], 0.5
	s_delay_alu instid0(VALU_DEP_1) | instskip(SKIP_1) | instid1(VALU_DEP_2)
	v_fma_f64 v[21:22], v[21:22], v[23:24], v[21:22]
	v_fma_f64 v[11:12], v[11:12], v[23:24], v[11:12]
	v_fma_f64 v[23:24], -v[21:22], v[21:22], v[9:10]
	s_delay_alu instid0(VALU_DEP_1) | instskip(NEXT) | instid1(VALU_DEP_1)
	v_fma_f64 v[21:22], v[23:24], v[11:12], v[21:22]
	v_fma_f64 v[23:24], -v[21:22], v[21:22], v[9:10]
	s_delay_alu instid0(VALU_DEP_1) | instskip(SKIP_2) | instid1(VALU_DEP_2)
	v_fma_f64 v[11:12], v[23:24], v[11:12], v[21:22]
	v_cndmask_b32_e64 v21, 0, 0xffffff80, vcc_lo
	v_cmp_class_f64_e64 vcc_lo, v[9:10], 0x260
	v_ldexp_f64 v[11:12], v[11:12], v21
	s_delay_alu instid0(VALU_DEP_1) | instskip(NEXT) | instid1(VALU_DEP_1)
	v_dual_cndmask_b32 v10, v12, v10 :: v_dual_cndmask_b32 v9, v11, v9
	v_mul_f64 v[11:12], v[7:8], v[9:10]
	s_or_b32 exec_lo, exec_lo, s3
	s_delay_alu instid0(VALU_DEP_1) | instskip(NEXT) | instid1(VALU_DEP_1)
	v_cmp_class_f64_e64 s26, v[11:12], 0x1f8
	s_and_saveexec_b32 s3, s26
	s_cbranch_execz .LBB56_3
.LBB56_33:                              ;   in Loop: Header=BB56_4 Depth=1
	v_add_co_u32 v7, vcc_lo, s18, v19
	v_add_co_ci_u32_e32 v8, vcc_lo, s19, v20, vcc_lo
	global_store_b128 v[7:8], v[1:4], off
	s_branch .LBB56_3
.LBB56_34:                              ;   in Loop: Header=BB56_4 Depth=1
	s_set_inst_prefetch_distance 0x2
	s_or_b32 exec_lo, exec_lo, s28
	s_and_saveexec_b32 s3, s27
	s_delay_alu instid0(SALU_CYCLE_1)
	s_xor_b32 s3, exec_lo, s3
	s_cbranch_execz .LBB56_36
; %bb.35:                               ;   in Loop: Header=BB56_4 Depth=1
	v_lshlrev_b64 v[11:12], 2, v[28:29]
	s_delay_alu instid0(VALU_DEP_1) | instskip(NEXT) | instid1(VALU_DEP_2)
	v_add_co_u32 v11, vcc_lo, s16, v11
	v_add_co_ci_u32_e32 v12, vcc_lo, s17, v12, vcc_lo
	global_load_b32 v11, v[11:12], off
	s_waitcnt vmcnt(0)
	v_ashrrev_i32_e32 v12, 31, v11
	s_delay_alu instid0(VALU_DEP_1) | instskip(NEXT) | instid1(VALU_DEP_1)
	v_lshlrev_b64 v[11:12], 4, v[11:12]
	v_add_co_u32 v11, vcc_lo, s18, v11
	s_delay_alu instid0(VALU_DEP_2)
	v_add_co_ci_u32_e32 v12, vcc_lo, s19, v12, vcc_lo
	global_load_b128 v[26:29], v[11:12], off
	s_waitcnt vmcnt(0)
	v_add_f64 v[24:25], v[24:25], v[26:27]
	v_add_f64 v[9:10], v[9:10], v[28:29]
.LBB56_36:                              ;   in Loop: Header=BB56_4 Depth=1
	s_or_b32 exec_lo, exec_lo, s3
	s_delay_alu instid0(SALU_CYCLE_1) | instskip(NEXT) | instid1(SALU_CYCLE_1)
	s_or_b32 exec_lo, exec_lo, s26
	s_mov_b32 s26, exec_lo
	v_cmpx_lt_i32_e64 v22, v31
	s_cbranch_execz .LBB56_14
.LBB56_37:                              ;   in Loop: Header=BB56_4 Depth=1
	v_ashrrev_i32_e32 v23, 31, v22
	s_mov_b32 s28, 0
                                        ; implicit-def: $sgpr27
                                        ; implicit-def: $sgpr30
                                        ; implicit-def: $sgpr29
	s_delay_alu instid0(VALU_DEP_1) | instskip(NEXT) | instid1(VALU_DEP_1)
	v_lshlrev_b64 v[11:12], 2, v[22:23]
	v_add_co_u32 v11, vcc_lo, s8, v11
	s_delay_alu instid0(VALU_DEP_2)
	v_add_co_ci_u32_e32 v12, vcc_lo, s9, v12, vcc_lo
	s_set_inst_prefetch_distance 0x1
	s_branch .LBB56_39
	.p2align	6
.LBB56_38:                              ;   in Loop: Header=BB56_39 Depth=2
	s_or_b32 exec_lo, exec_lo, s31
	s_delay_alu instid0(SALU_CYCLE_1) | instskip(NEXT) | instid1(SALU_CYCLE_1)
	s_and_b32 s3, exec_lo, s30
	s_or_b32 s28, s3, s28
	s_and_not1_b32 s3, s27, exec_lo
	s_and_b32 s27, s29, exec_lo
	s_delay_alu instid0(SALU_CYCLE_1)
	s_or_b32 s27, s3, s27
	s_and_not1_b32 exec_lo, exec_lo, s28
	s_cbranch_execz .LBB56_41
.LBB56_39:                              ;   Parent Loop BB56_4 Depth=1
                                        ; =>  This Inner Loop Header: Depth=2
	global_load_b32 v28, v[11:12], off
	v_dual_mov_b32 v27, v23 :: v_dual_mov_b32 v26, v22
	s_or_b32 s29, s29, exec_lo
	s_or_b32 s30, s30, exec_lo
	s_mov_b32 s31, exec_lo
                                        ; implicit-def: $vgpr22_vgpr23
	s_waitcnt vmcnt(0)
	v_cmpx_ne_u32_e64 v28, v33
	s_cbranch_execz .LBB56_38
; %bb.40:                               ;   in Loop: Header=BB56_39 Depth=2
	v_add_co_u32 v22, vcc_lo, v26, 1
	v_add_co_ci_u32_e32 v23, vcc_lo, 0, v27, vcc_lo
	v_add_co_u32 v11, s3, v11, 4
	s_delay_alu instid0(VALU_DEP_3) | instskip(SKIP_4) | instid1(SALU_CYCLE_1)
	v_cmp_ge_i32_e32 vcc_lo, v22, v31
	v_add_co_ci_u32_e64 v12, s3, 0, v12, s3
	s_and_not1_b32 s3, s30, exec_lo
	s_and_not1_b32 s29, s29, exec_lo
	s_and_b32 s30, vcc_lo, exec_lo
	s_or_b32 s30, s3, s30
	s_branch .LBB56_38
.LBB56_41:                              ;   in Loop: Header=BB56_4 Depth=1
	s_set_inst_prefetch_distance 0x2
	s_or_b32 exec_lo, exec_lo, s28
	s_and_saveexec_b32 s3, s27
	s_delay_alu instid0(SALU_CYCLE_1)
	s_xor_b32 s3, exec_lo, s3
	s_cbranch_execz .LBB56_43
; %bb.42:                               ;   in Loop: Header=BB56_4 Depth=1
	v_lshlrev_b64 v[11:12], 4, v[26:27]
	s_delay_alu instid0(VALU_DEP_1) | instskip(NEXT) | instid1(VALU_DEP_2)
	v_add_co_u32 v11, vcc_lo, s18, v11
	v_add_co_ci_u32_e32 v12, vcc_lo, s19, v12, vcc_lo
	global_load_b128 v[26:29], v[11:12], off
	s_waitcnt vmcnt(0)
	v_fma_f64 v[11:12], v[26:27], v[5:6], v[24:25]
	v_fma_f64 v[9:10], v[28:29], v[5:6], v[9:10]
	s_delay_alu instid0(VALU_DEP_2) | instskip(NEXT) | instid1(VALU_DEP_2)
	v_fma_f64 v[24:25], -v[28:29], v[7:8], v[11:12]
	v_fma_f64 v[9:10], v[26:27], v[7:8], v[9:10]
.LBB56_43:                              ;   in Loop: Header=BB56_4 Depth=1
	s_or_b32 exec_lo, exec_lo, s3
	s_delay_alu instid0(SALU_CYCLE_1) | instskip(NEXT) | instid1(SALU_CYCLE_1)
	s_or_b32 exec_lo, exec_lo, s26
	s_mov_b32 s3, exec_lo
	v_cmpx_eq_u32_e64 v13, v21
	s_cbranch_execnz .LBB56_15
	s_branch .LBB56_16
.LBB56_44:
	s_or_b32 exec_lo, exec_lo, s5
.LBB56_45:
	s_delay_alu instid0(SALU_CYCLE_1)
	s_or_b32 exec_lo, exec_lo, s25
.LBB56_46:
	s_delay_alu instid0(SALU_CYCLE_1)
	s_or_b32 exec_lo, exec_lo, s24
	v_lshlrev_b32_e32 v1, 3, v0
	s_mov_b32 s2, exec_lo
	ds_store_b64 v1, v[14:15]
	s_waitcnt lgkmcnt(0)
	s_waitcnt_vscnt null, 0x0
	s_barrier
	buffer_gl0_inv
	v_cmpx_gt_u32_e32 0x200, v0
	s_cbranch_execz .LBB56_48
; %bb.47:
	ds_load_2addr_stride64_b64 v[2:5], v1 offset1:8
	s_waitcnt lgkmcnt(0)
	v_cmp_lt_f64_e32 vcc_lo, v[2:3], v[4:5]
	v_dual_cndmask_b32 v3, v3, v5 :: v_dual_cndmask_b32 v2, v2, v4
	ds_store_b64 v1, v[2:3]
.LBB56_48:
	s_or_b32 exec_lo, exec_lo, s2
	s_delay_alu instid0(SALU_CYCLE_1)
	s_mov_b32 s2, exec_lo
	s_waitcnt lgkmcnt(0)
	s_barrier
	buffer_gl0_inv
	v_cmpx_gt_u32_e32 0x100, v0
	s_cbranch_execz .LBB56_50
; %bb.49:
	ds_load_2addr_stride64_b64 v[2:5], v1 offset1:4
	s_waitcnt lgkmcnt(0)
	v_cmp_lt_f64_e32 vcc_lo, v[2:3], v[4:5]
	v_dual_cndmask_b32 v3, v3, v5 :: v_dual_cndmask_b32 v2, v2, v4
	ds_store_b64 v1, v[2:3]
.LBB56_50:
	s_or_b32 exec_lo, exec_lo, s2
	s_delay_alu instid0(SALU_CYCLE_1)
	s_mov_b32 s2, exec_lo
	s_waitcnt lgkmcnt(0)
	;; [unrolled: 15-line block ×4, first 2 shown]
	s_barrier
	buffer_gl0_inv
	v_cmpx_gt_u32_e32 32, v0
	s_cbranch_execz .LBB56_56
; %bb.55:
	ds_load_2addr_b64 v[2:5], v1 offset1:32
	s_waitcnt lgkmcnt(0)
	v_cmp_lt_f64_e32 vcc_lo, v[2:3], v[4:5]
	v_dual_cndmask_b32 v3, v3, v5 :: v_dual_cndmask_b32 v2, v2, v4
	ds_store_b64 v1, v[2:3]
.LBB56_56:
	s_or_b32 exec_lo, exec_lo, s2
	s_delay_alu instid0(SALU_CYCLE_1)
	s_mov_b32 s2, exec_lo
	s_waitcnt lgkmcnt(0)
	s_barrier
	buffer_gl0_inv
	v_cmpx_gt_u32_e32 16, v0
	s_cbranch_execz .LBB56_58
; %bb.57:
	ds_load_2addr_b64 v[2:5], v1 offset1:16
	s_waitcnt lgkmcnt(0)
	v_cmp_lt_f64_e32 vcc_lo, v[2:3], v[4:5]
	v_dual_cndmask_b32 v3, v3, v5 :: v_dual_cndmask_b32 v2, v2, v4
	ds_store_b64 v1, v[2:3]
.LBB56_58:
	s_or_b32 exec_lo, exec_lo, s2
	s_delay_alu instid0(SALU_CYCLE_1)
	s_mov_b32 s2, exec_lo
	s_waitcnt lgkmcnt(0)
	s_barrier
	buffer_gl0_inv
	v_cmpx_gt_u32_e32 8, v0
	s_cbranch_execz .LBB56_60
; %bb.59:
	ds_load_2addr_b64 v[2:5], v1 offset1:8
	s_waitcnt lgkmcnt(0)
	v_cmp_lt_f64_e32 vcc_lo, v[2:3], v[4:5]
	v_dual_cndmask_b32 v3, v3, v5 :: v_dual_cndmask_b32 v2, v2, v4
	ds_store_b64 v1, v[2:3]
.LBB56_60:
	s_or_b32 exec_lo, exec_lo, s2
	s_delay_alu instid0(SALU_CYCLE_1)
	s_mov_b32 s2, exec_lo
	s_waitcnt lgkmcnt(0)
	s_barrier
	buffer_gl0_inv
	v_cmpx_gt_u32_e32 4, v0
	s_cbranch_execz .LBB56_62
; %bb.61:
	ds_load_2addr_b64 v[2:5], v1 offset1:4
	s_waitcnt lgkmcnt(0)
	v_cmp_lt_f64_e32 vcc_lo, v[2:3], v[4:5]
	v_dual_cndmask_b32 v3, v3, v5 :: v_dual_cndmask_b32 v2, v2, v4
	ds_store_b64 v1, v[2:3]
.LBB56_62:
	s_or_b32 exec_lo, exec_lo, s2
	s_delay_alu instid0(SALU_CYCLE_1)
	s_mov_b32 s2, exec_lo
	s_waitcnt lgkmcnt(0)
	s_barrier
	buffer_gl0_inv
	v_cmpx_gt_u32_e32 2, v0
	s_cbranch_execz .LBB56_64
; %bb.63:
	ds_load_2addr_b64 v[2:5], v1 offset1:2
	s_waitcnt lgkmcnt(0)
	v_cmp_lt_f64_e32 vcc_lo, v[2:3], v[4:5]
	v_dual_cndmask_b32 v3, v3, v5 :: v_dual_cndmask_b32 v2, v2, v4
	ds_store_b64 v1, v[2:3]
.LBB56_64:
	s_or_b32 exec_lo, exec_lo, s2
	v_cmp_eq_u32_e32 vcc_lo, 0, v0
	s_waitcnt lgkmcnt(0)
	s_barrier
	buffer_gl0_inv
	s_and_saveexec_b32 s3, vcc_lo
	s_cbranch_execz .LBB56_66
; %bb.65:
	v_mov_b32_e32 v4, 0
	ds_load_b128 v[0:3], v4
	s_waitcnt lgkmcnt(0)
	v_cmp_lt_f64_e64 s2, v[0:1], v[2:3]
	s_delay_alu instid0(VALU_DEP_1)
	v_cndmask_b32_e64 v1, v1, v3, s2
	v_cndmask_b32_e64 v0, v0, v2, s2
	ds_store_b64 v4, v[0:1]
.LBB56_66:
	s_or_b32 exec_lo, exec_lo, s3
	s_waitcnt lgkmcnt(0)
	s_barrier
	buffer_gl0_inv
	s_and_saveexec_b32 s2, vcc_lo
	s_cbranch_execz .LBB56_71
; %bb.67:
	s_load_b128 s[4:7], s[0:1], 0x70
	v_mov_b32_e32 v4, 0
	s_brev_b32 s3, 1
	s_mov_b32 s2, 0
	ds_load_b64 v[0:1], v4
	s_waitcnt lgkmcnt(0)
	s_load_b64 s[0:1], s[6:7], 0x0
	global_load_b64 v[2:3], v4, s[4:5] glc
	s_waitcnt lgkmcnt(0)
	v_div_scale_f64 v[5:6], null, s[0:1], s[0:1], v[0:1]
	s_delay_alu instid0(VALU_DEP_1) | instskip(SKIP_2) | instid1(VALU_DEP_1)
	v_rcp_f64_e32 v[7:8], v[5:6]
	s_waitcnt_depctr 0xfff
	v_fma_f64 v[9:10], -v[5:6], v[7:8], 1.0
	v_fma_f64 v[7:8], v[7:8], v[9:10], v[7:8]
	s_delay_alu instid0(VALU_DEP_1) | instskip(NEXT) | instid1(VALU_DEP_1)
	v_fma_f64 v[9:10], -v[5:6], v[7:8], 1.0
	v_fma_f64 v[7:8], v[7:8], v[9:10], v[7:8]
	v_div_scale_f64 v[9:10], vcc_lo, v[0:1], s[0:1], v[0:1]
	s_delay_alu instid0(VALU_DEP_1) | instskip(NEXT) | instid1(VALU_DEP_1)
	v_mul_f64 v[11:12], v[9:10], v[7:8]
	v_fma_f64 v[5:6], -v[5:6], v[11:12], v[9:10]
	s_waitcnt vmcnt(0)
	v_cmp_eq_u64_e64 s6, s[2:3], v[2:3]
                                        ; implicit-def: $sgpr3
	s_delay_alu instid0(VALU_DEP_2) | instskip(NEXT) | instid1(VALU_DEP_1)
	v_div_fmas_f64 v[5:6], v[5:6], v[7:8], v[11:12]
	v_div_fixup_f64 v[0:1], v[5:6], s[0:1], v[0:1]
                                        ; implicit-def: $sgpr1
	s_delay_alu instid0(VALU_DEP_1)
	v_cmp_eq_f64_e32 vcc_lo, 0, v[0:1]
	s_set_inst_prefetch_distance 0x1
	s_branch .LBB56_69
	.p2align	6
.LBB56_68:                              ;   in Loop: Header=BB56_69 Depth=1
	s_or_b32 exec_lo, exec_lo, s7
	s_delay_alu instid0(SALU_CYCLE_1) | instskip(NEXT) | instid1(SALU_CYCLE_1)
	s_and_b32 s0, exec_lo, s1
	s_or_b32 s2, s0, s2
	s_and_not1_b32 s0, s6, exec_lo
	s_and_b32 s6, s3, exec_lo
	s_delay_alu instid0(SALU_CYCLE_1)
	s_or_b32 s6, s0, s6
	s_and_not1_b32 exec_lo, exec_lo, s2
	s_cbranch_execz .LBB56_71
.LBB56_69:                              ; =>This Inner Loop Header: Depth=1
	v_cmp_lt_f64_e64 s0, v[2:3], v[0:1]
	s_and_b32 s7, vcc_lo, s6
	s_and_not1_b32 s3, s3, exec_lo
	s_or_b32 s1, s1, exec_lo
	s_delay_alu instid0(VALU_DEP_1) | instskip(NEXT) | instid1(SALU_CYCLE_1)
	s_or_b32 s0, s0, s7
	s_and_saveexec_b32 s7, s0
	s_cbranch_execz .LBB56_68
; %bb.70:                               ;   in Loop: Header=BB56_69 Depth=1
	global_atomic_cmpswap_b64 v[5:6], v4, v[0:3], s[4:5] glc
	s_and_not1_b32 s3, s3, exec_lo
	s_and_not1_b32 s1, s1, exec_lo
	s_waitcnt vmcnt(0)
	v_cmp_eq_u64_e64 s0, v[5:6], v[2:3]
	s_delay_alu instid0(VALU_DEP_1) | instskip(SKIP_2) | instid1(SALU_CYCLE_1)
	v_cndmask_b32_e64 v3, v6, v3, s0
	v_cndmask_b32_e64 v2, v5, v2, s0
	s_and_b32 s0, s0, exec_lo
	s_or_b32 s1, s1, s0
	s_delay_alu instid0(VALU_DEP_1) | instskip(SKIP_1) | instid1(VALU_DEP_2)
	v_cmp_class_f64_e64 s6, v[2:3], 32
	v_dual_mov_b32 v2, v5 :: v_dual_mov_b32 v3, v6
	s_and_b32 s6, s6, exec_lo
	s_delay_alu instid0(SALU_CYCLE_1)
	s_or_b32 s3, s3, s6
                                        ; implicit-def: $sgpr6
	s_branch .LBB56_68
.LBB56_71:
	s_set_inst_prefetch_distance 0x2
	s_endpgm
	.section	.rodata,"a",@progbits
	.p2align	6, 0x0
	.amdhsa_kernel _ZN9rocsparseL16kernel_calculateILi1024ELi1ELb1E21rocsparse_complex_numIdEiiEEvT4_T3_PKS4_S6_PKS3_PKT2_21rocsparse_index_base_S6_S6_S8_S6_S6_S8_S6_PS9_PNS_15floating_traitsIS9_E6data_tEPKSG_
		.amdhsa_group_segment_fixed_size 8192
		.amdhsa_private_segment_fixed_size 0
		.amdhsa_kernarg_size 128
		.amdhsa_user_sgpr_count 15
		.amdhsa_user_sgpr_dispatch_ptr 0
		.amdhsa_user_sgpr_queue_ptr 0
		.amdhsa_user_sgpr_kernarg_segment_ptr 1
		.amdhsa_user_sgpr_dispatch_id 0
		.amdhsa_user_sgpr_private_segment_size 0
		.amdhsa_wavefront_size32 1
		.amdhsa_uses_dynamic_stack 0
		.amdhsa_enable_private_segment 0
		.amdhsa_system_sgpr_workgroup_id_x 1
		.amdhsa_system_sgpr_workgroup_id_y 0
		.amdhsa_system_sgpr_workgroup_id_z 0
		.amdhsa_system_sgpr_workgroup_info 0
		.amdhsa_system_vgpr_workitem_id 0
		.amdhsa_next_free_vgpr 45
		.amdhsa_next_free_sgpr 32
		.amdhsa_reserve_vcc 1
		.amdhsa_float_round_mode_32 0
		.amdhsa_float_round_mode_16_64 0
		.amdhsa_float_denorm_mode_32 3
		.amdhsa_float_denorm_mode_16_64 3
		.amdhsa_dx10_clamp 1
		.amdhsa_ieee_mode 1
		.amdhsa_fp16_overflow 0
		.amdhsa_workgroup_processor_mode 1
		.amdhsa_memory_ordered 1
		.amdhsa_forward_progress 0
		.amdhsa_shared_vgpr_count 0
		.amdhsa_exception_fp_ieee_invalid_op 0
		.amdhsa_exception_fp_denorm_src 0
		.amdhsa_exception_fp_ieee_div_zero 0
		.amdhsa_exception_fp_ieee_overflow 0
		.amdhsa_exception_fp_ieee_underflow 0
		.amdhsa_exception_fp_ieee_inexact 0
		.amdhsa_exception_int_div_zero 0
	.end_amdhsa_kernel
	.section	.text._ZN9rocsparseL16kernel_calculateILi1024ELi1ELb1E21rocsparse_complex_numIdEiiEEvT4_T3_PKS4_S6_PKS3_PKT2_21rocsparse_index_base_S6_S6_S8_S6_S6_S8_S6_PS9_PNS_15floating_traitsIS9_E6data_tEPKSG_,"axG",@progbits,_ZN9rocsparseL16kernel_calculateILi1024ELi1ELb1E21rocsparse_complex_numIdEiiEEvT4_T3_PKS4_S6_PKS3_PKT2_21rocsparse_index_base_S6_S6_S8_S6_S6_S8_S6_PS9_PNS_15floating_traitsIS9_E6data_tEPKSG_,comdat
.Lfunc_end56:
	.size	_ZN9rocsparseL16kernel_calculateILi1024ELi1ELb1E21rocsparse_complex_numIdEiiEEvT4_T3_PKS4_S6_PKS3_PKT2_21rocsparse_index_base_S6_S6_S8_S6_S6_S8_S6_PS9_PNS_15floating_traitsIS9_E6data_tEPKSG_, .Lfunc_end56-_ZN9rocsparseL16kernel_calculateILi1024ELi1ELb1E21rocsparse_complex_numIdEiiEEvT4_T3_PKS4_S6_PKS3_PKT2_21rocsparse_index_base_S6_S6_S8_S6_S6_S8_S6_PS9_PNS_15floating_traitsIS9_E6data_tEPKSG_
                                        ; -- End function
	.section	.AMDGPU.csdata,"",@progbits
; Kernel info:
; codeLenInByte = 4576
; NumSgprs: 34
; NumVgprs: 45
; ScratchSize: 0
; MemoryBound: 1
; FloatMode: 240
; IeeeMode: 1
; LDSByteSize: 8192 bytes/workgroup (compile time only)
; SGPRBlocks: 4
; VGPRBlocks: 5
; NumSGPRsForWavesPerEU: 34
; NumVGPRsForWavesPerEU: 45
; Occupancy: 16
; WaveLimiterHint : 1
; COMPUTE_PGM_RSRC2:SCRATCH_EN: 0
; COMPUTE_PGM_RSRC2:USER_SGPR: 15
; COMPUTE_PGM_RSRC2:TRAP_HANDLER: 0
; COMPUTE_PGM_RSRC2:TGID_X_EN: 1
; COMPUTE_PGM_RSRC2:TGID_Y_EN: 0
; COMPUTE_PGM_RSRC2:TGID_Z_EN: 0
; COMPUTE_PGM_RSRC2:TIDIG_COMP_CNT: 0
	.section	.text._ZN9rocsparseL16kernel_calculateILi1024ELi2ELb1E21rocsparse_complex_numIdEiiEEvT4_T3_PKS4_S6_PKS3_PKT2_21rocsparse_index_base_S6_S6_S8_S6_S6_S8_S6_PS9_PNS_15floating_traitsIS9_E6data_tEPKSG_,"axG",@progbits,_ZN9rocsparseL16kernel_calculateILi1024ELi2ELb1E21rocsparse_complex_numIdEiiEEvT4_T3_PKS4_S6_PKS3_PKT2_21rocsparse_index_base_S6_S6_S8_S6_S6_S8_S6_PS9_PNS_15floating_traitsIS9_E6data_tEPKSG_,comdat
	.globl	_ZN9rocsparseL16kernel_calculateILi1024ELi2ELb1E21rocsparse_complex_numIdEiiEEvT4_T3_PKS4_S6_PKS3_PKT2_21rocsparse_index_base_S6_S6_S8_S6_S6_S8_S6_PS9_PNS_15floating_traitsIS9_E6data_tEPKSG_ ; -- Begin function _ZN9rocsparseL16kernel_calculateILi1024ELi2ELb1E21rocsparse_complex_numIdEiiEEvT4_T3_PKS4_S6_PKS3_PKT2_21rocsparse_index_base_S6_S6_S8_S6_S6_S8_S6_PS9_PNS_15floating_traitsIS9_E6data_tEPKSG_
	.p2align	8
	.type	_ZN9rocsparseL16kernel_calculateILi1024ELi2ELb1E21rocsparse_complex_numIdEiiEEvT4_T3_PKS4_S6_PKS3_PKT2_21rocsparse_index_base_S6_S6_S8_S6_S6_S8_S6_PS9_PNS_15floating_traitsIS9_E6data_tEPKSG_,@function
_ZN9rocsparseL16kernel_calculateILi1024ELi2ELb1E21rocsparse_complex_numIdEiiEEvT4_T3_PKS4_S6_PKS3_PKT2_21rocsparse_index_base_S6_S6_S8_S6_S6_S8_S6_PS9_PNS_15floating_traitsIS9_E6data_tEPKSG_: ; @_ZN9rocsparseL16kernel_calculateILi1024ELi2ELb1E21rocsparse_complex_numIdEiiEEvT4_T3_PKS4_S6_PKS3_PKT2_21rocsparse_index_base_S6_S6_S8_S6_S6_S8_S6_PS9_PNS_15floating_traitsIS9_E6data_tEPKSG_
; %bb.0:
	s_load_b32 s28, s[0:1], 0x0
	v_lshrrev_b32_e32 v28, 1, v0
	v_mov_b32_e32 v13, 0
	v_dual_mov_b32 v14, 0 :: v_dual_and_b32 v29, 1, v0
	s_mov_b32 s29, exec_lo
	s_delay_alu instid0(VALU_DEP_3) | instskip(SKIP_1) | instid1(VALU_DEP_1)
	v_lshl_or_b32 v30, s15, 10, v28
	s_waitcnt lgkmcnt(0)
	v_cmpx_gt_i32_e64 s28, v30
	s_cbranch_execz .LBB57_49
; %bb.1:
	s_clause 0x3
	s_load_b32 s30, s[0:1], 0x28
	s_load_b256 s[4:11], s[0:1], 0x50
	s_load_b256 s[12:19], s[0:1], 0x30
	;; [unrolled: 1-line block ×3, first 2 shown]
	v_mov_b32_e32 v13, 0
	v_mov_b32_e32 v14, 0
	s_mov_b32 s2, 0
	s_mov_b32 s31, -1
	s_waitcnt lgkmcnt(0)
	v_subrev_nc_u32_e32 v31, s30, v29
	s_branch .LBB57_5
.LBB57_2:                               ;   in Loop: Header=BB57_5 Depth=1
	s_or_b32 exec_lo, exec_lo, s35
.LBB57_3:                               ;   in Loop: Header=BB57_5 Depth=1
	s_delay_alu instid0(SALU_CYCLE_1)
	s_or_b32 exec_lo, exec_lo, s34
.LBB57_4:                               ;   in Loop: Header=BB57_5 Depth=1
	s_delay_alu instid0(SALU_CYCLE_1)
	s_or_b32 exec_lo, exec_lo, s33
	s_xor_b32 s3, s31, -1
	s_movk_i32 s2, 0x200
	s_and_not1_b32 vcc_lo, exec_lo, s3
	s_mov_b32 s31, 0
	s_cbranch_vccz .LBB57_49
.LBB57_5:                               ; =>This Loop Header: Depth=1
                                        ;     Child Loop BB57_9 Depth 2
                                        ;       Child Loop BB57_12 Depth 3
                                        ;       Child Loop BB57_32 Depth 3
	;; [unrolled: 1-line block ×3, first 2 shown]
	v_or_b32_e32 v15, s2, v30
	s_mov_b32 s33, exec_lo
	s_delay_alu instid0(VALU_DEP_1)
	v_cmpx_gt_i32_e64 s28, v15
	s_cbranch_execz .LBB57_4
; %bb.6:                                ;   in Loop: Header=BB57_5 Depth=1
	v_ashrrev_i32_e32 v16, 31, v15
	s_mov_b32 s34, exec_lo
	s_delay_alu instid0(VALU_DEP_1) | instskip(NEXT) | instid1(VALU_DEP_1)
	v_lshlrev_b64 v[1:2], 2, v[15:16]
	v_add_co_u32 v3, vcc_lo, s22, v1
	s_delay_alu instid0(VALU_DEP_2)
	v_add_co_ci_u32_e32 v4, vcc_lo, s23, v2, vcc_lo
	v_add_co_u32 v5, vcc_lo, s20, v1
	v_add_co_ci_u32_e32 v6, vcc_lo, s21, v2, vcc_lo
	global_load_b32 v3, v[3:4], off
	global_load_b32 v4, v[5:6], off
	s_waitcnt vmcnt(1)
	v_subrev_nc_u32_e32 v32, s30, v3
	s_waitcnt vmcnt(0)
	v_add_nc_u32_e32 v16, v31, v4
	s_delay_alu instid0(VALU_DEP_1)
	v_cmpx_lt_i32_e64 v16, v32
	s_cbranch_execz .LBB57_3
; %bb.7:                                ;   in Loop: Header=BB57_5 Depth=1
	v_add_co_u32 v3, vcc_lo, s14, v1
	v_add_co_ci_u32_e32 v4, vcc_lo, s15, v2, vcc_lo
	v_add_co_u32 v1, vcc_lo, s12, v1
	v_add_co_ci_u32_e32 v2, vcc_lo, s13, v2, vcc_lo
	s_mov_b32 s35, 0
	global_load_b32 v3, v[3:4], off
	global_load_b32 v1, v[1:2], off
	s_waitcnt vmcnt(1)
	v_subrev_nc_u32_e32 v33, s30, v3
	s_waitcnt vmcnt(0)
	v_subrev_nc_u32_e32 v34, s30, v1
	v_cmp_lt_i32_e64 s2, v1, v3
	s_branch .LBB57_9
.LBB57_8:                               ;   in Loop: Header=BB57_9 Depth=2
	s_or_b32 exec_lo, exec_lo, s3
	v_cmp_nlg_f64_e64 s36, 0x7ff00000, |v[5:6]|
	v_cmp_gt_f64_e32 vcc_lo, v[13:14], v[5:6]
	s_delay_alu instid0(VALU_DEP_2) | instskip(SKIP_2) | instid1(VALU_DEP_2)
	s_or_b32 vcc_lo, s36, vcc_lo
	v_dual_cndmask_b32 v13, v5, v13 :: v_dual_add_nc_u32 v16, 2, v16
	v_cndmask_b32_e32 v14, v6, v14, vcc_lo
	v_cmp_ge_i32_e64 s3, v16, v32
	s_delay_alu instid0(VALU_DEP_1) | instskip(NEXT) | instid1(SALU_CYCLE_1)
	s_or_b32 s35, s3, s35
	s_and_not1_b32 exec_lo, exec_lo, s35
	s_cbranch_execz .LBB57_2
.LBB57_9:                               ;   Parent Loop BB57_5 Depth=1
                                        ; =>  This Loop Header: Depth=2
                                        ;       Child Loop BB57_12 Depth 3
                                        ;       Child Loop BB57_32 Depth 3
	;; [unrolled: 1-line block ×3, first 2 shown]
	v_ashrrev_i32_e32 v17, 31, v16
	v_mov_b32_e32 v22, 0
	v_mov_b32_e32 v23, 0
	s_delay_alu instid0(VALU_DEP_3) | instskip(SKIP_1) | instid1(VALU_DEP_2)
	v_lshlrev_b64 v[1:2], 2, v[16:17]
	v_lshlrev_b64 v[17:18], 4, v[16:17]
	v_add_co_u32 v1, vcc_lo, s24, v1
	s_delay_alu instid0(VALU_DEP_3) | instskip(SKIP_3) | instid1(VALU_DEP_1)
	v_add_co_ci_u32_e32 v2, vcc_lo, s25, v2, vcc_lo
	global_load_b32 v35, v[1:2], off
	s_waitcnt vmcnt(0)
	v_subrev_nc_u32_e32 v19, s30, v35
	v_ashrrev_i32_e32 v20, 31, v19
	s_delay_alu instid0(VALU_DEP_1) | instskip(NEXT) | instid1(VALU_DEP_1)
	v_lshlrev_b64 v[1:2], 2, v[19:20]
	v_add_co_u32 v3, vcc_lo, s14, v1
	s_delay_alu instid0(VALU_DEP_2)
	v_add_co_ci_u32_e32 v4, vcc_lo, s15, v2, vcc_lo
	v_add_co_u32 v5, vcc_lo, s4, v1
	v_add_co_ci_u32_e32 v6, vcc_lo, s5, v2, vcc_lo
	global_load_b32 v3, v[3:4], off
	v_add_co_u32 v1, vcc_lo, s18, v1
	v_add_co_ci_u32_e32 v2, vcc_lo, s19, v2, vcc_lo
	v_add_co_u32 v7, vcc_lo, s26, v17
	v_add_co_ci_u32_e32 v8, vcc_lo, s27, v18, vcc_lo
	global_load_b32 v20, v[5:6], off
	global_load_b32 v21, v[1:2], off
	s_waitcnt vmcnt(2)
	v_subrev_nc_u32_e32 v3, s30, v3
	s_delay_alu instid0(VALU_DEP_1)
	v_ashrrev_i32_e32 v4, 31, v3
	s_waitcnt vmcnt(1)
	v_subrev_nc_u32_e32 v36, s30, v20
	s_waitcnt vmcnt(0)
	v_subrev_nc_u32_e32 v24, s30, v21
	v_lshlrev_b64 v[3:4], 4, v[3:4]
	s_delay_alu instid0(VALU_DEP_1) | instskip(NEXT) | instid1(VALU_DEP_2)
	v_add_co_u32 v1, vcc_lo, s10, v3
	v_add_co_ci_u32_e32 v2, vcc_lo, s11, v4, vcc_lo
	v_cmp_lt_i32_e32 vcc_lo, v21, v20
	v_mov_b32_e32 v20, v34
	global_load_b128 v[9:12], v[7:8], off
	global_load_b128 v[5:8], v[1:2], off
	v_dual_mov_b32 v27, v23 :: v_dual_mov_b32 v26, v22
	s_and_b32 s3, s2, vcc_lo
	s_delay_alu instid0(SALU_CYCLE_1)
	s_and_saveexec_b32 s36, s3
	s_cbranch_execz .LBB57_15
; %bb.10:                               ;   in Loop: Header=BB57_9 Depth=2
	v_mov_b32_e32 v22, 0
	v_dual_mov_b32 v23, 0 :: v_dual_mov_b32 v20, v34
	s_mov_b32 s37, 0
	s_delay_alu instid0(VALU_DEP_1)
	v_dual_mov_b32 v27, v23 :: v_dual_mov_b32 v26, v22
	s_branch .LBB57_12
.LBB57_11:                              ;   in Loop: Header=BB57_12 Depth=3
	s_or_b32 exec_lo, exec_lo, s3
	v_cmp_le_i32_e32 vcc_lo, v3, v4
	v_add_co_ci_u32_e32 v20, vcc_lo, 0, v20, vcc_lo
	v_cmp_ge_i32_e32 vcc_lo, v3, v4
	v_add_co_ci_u32_e32 v24, vcc_lo, 0, v24, vcc_lo
	s_delay_alu instid0(VALU_DEP_3) | instskip(NEXT) | instid1(VALU_DEP_2)
	v_cmp_ge_i32_e32 vcc_lo, v20, v33
	v_cmp_ge_i32_e64 s3, v24, v36
	s_delay_alu instid0(VALU_DEP_1) | instskip(NEXT) | instid1(SALU_CYCLE_1)
	s_or_b32 s3, vcc_lo, s3
	s_and_b32 s3, exec_lo, s3
	s_delay_alu instid0(SALU_CYCLE_1) | instskip(NEXT) | instid1(SALU_CYCLE_1)
	s_or_b32 s37, s3, s37
	s_and_not1_b32 exec_lo, exec_lo, s37
	s_cbranch_execz .LBB57_14
.LBB57_12:                              ;   Parent Loop BB57_5 Depth=1
                                        ;     Parent Loop BB57_9 Depth=2
                                        ; =>    This Inner Loop Header: Depth=3
	s_delay_alu instid0(VALU_DEP_2) | instskip(SKIP_2) | instid1(VALU_DEP_2)
	v_ashrrev_i32_e32 v21, 31, v20
	v_ashrrev_i32_e32 v25, 31, v24
	s_mov_b32 s3, exec_lo
	v_lshlrev_b64 v[3:4], 2, v[20:21]
	s_delay_alu instid0(VALU_DEP_2) | instskip(NEXT) | instid1(VALU_DEP_2)
	v_lshlrev_b64 v[1:2], 2, v[24:25]
	v_add_co_u32 v3, vcc_lo, s16, v3
	s_delay_alu instid0(VALU_DEP_3) | instskip(NEXT) | instid1(VALU_DEP_3)
	v_add_co_ci_u32_e32 v4, vcc_lo, s17, v4, vcc_lo
	v_add_co_u32 v37, vcc_lo, s6, v1
	s_delay_alu instid0(VALU_DEP_4)
	v_add_co_ci_u32_e32 v38, vcc_lo, s7, v2, vcc_lo
	global_load_b32 v3, v[3:4], off
	global_load_b32 v4, v[37:38], off
	s_waitcnt vmcnt(0)
	v_cmpx_eq_u32_e64 v3, v4
	s_cbranch_execz .LBB57_11
; %bb.13:                               ;   in Loop: Header=BB57_12 Depth=3
	v_add_co_u32 v1, vcc_lo, s8, v1
	v_add_co_ci_u32_e32 v2, vcc_lo, s9, v2, vcc_lo
	v_lshlrev_b64 v[37:38], 4, v[20:21]
	global_load_b32 v1, v[1:2], off
	v_add_co_u32 v37, vcc_lo, s10, v37
	v_add_co_ci_u32_e32 v38, vcc_lo, s11, v38, vcc_lo
	s_waitcnt vmcnt(0)
	v_ashrrev_i32_e32 v2, 31, v1
	s_delay_alu instid0(VALU_DEP_1) | instskip(NEXT) | instid1(VALU_DEP_1)
	v_lshlrev_b64 v[1:2], 4, v[1:2]
	v_add_co_u32 v1, vcc_lo, s10, v1
	s_delay_alu instid0(VALU_DEP_2)
	v_add_co_ci_u32_e32 v2, vcc_lo, s11, v2, vcc_lo
	s_clause 0x1
	global_load_b128 v[37:40], v[37:38], off
	global_load_b128 v[41:44], v[1:2], off
	s_waitcnt vmcnt(0)
	v_fma_f64 v[1:2], v[37:38], v[41:42], v[22:23]
	v_fma_f64 v[25:26], v[39:40], v[41:42], v[26:27]
	s_delay_alu instid0(VALU_DEP_2) | instskip(NEXT) | instid1(VALU_DEP_2)
	v_fma_f64 v[22:23], -v[39:40], v[43:44], v[1:2]
	v_fma_f64 v[26:27], v[37:38], v[43:44], v[25:26]
	s_branch .LBB57_11
.LBB57_14:                              ;   in Loop: Header=BB57_9 Depth=2
	s_or_b32 exec_lo, exec_lo, s37
.LBB57_15:                              ;   in Loop: Header=BB57_9 Depth=2
	s_delay_alu instid0(SALU_CYCLE_1)
	s_or_b32 exec_lo, exec_lo, s36
	s_waitcnt vmcnt(1)
	v_add_f64 v[1:2], v[9:10], -v[22:23]
	v_add_f64 v[3:4], v[11:12], -v[26:27]
	s_mov_b32 s3, exec_lo
	v_cmpx_gt_i32_e64 v15, v19
	s_cbranch_execz .LBB57_17
; %bb.16:                               ;   in Loop: Header=BB57_9 Depth=2
	s_waitcnt vmcnt(0)
	v_mul_f64 v[37:38], v[7:8], v[7:8]
	s_delay_alu instid0(VALU_DEP_1) | instskip(NEXT) | instid1(VALU_DEP_1)
	v_fma_f64 v[37:38], v[5:6], v[5:6], v[37:38]
	v_div_scale_f64 v[39:40], null, v[37:38], v[37:38], 1.0
	v_div_scale_f64 v[45:46], vcc_lo, 1.0, v[37:38], 1.0
	s_delay_alu instid0(VALU_DEP_2) | instskip(SKIP_2) | instid1(VALU_DEP_1)
	v_rcp_f64_e32 v[41:42], v[39:40]
	s_waitcnt_depctr 0xfff
	v_fma_f64 v[43:44], -v[39:40], v[41:42], 1.0
	v_fma_f64 v[41:42], v[41:42], v[43:44], v[41:42]
	s_delay_alu instid0(VALU_DEP_1) | instskip(NEXT) | instid1(VALU_DEP_1)
	v_fma_f64 v[43:44], -v[39:40], v[41:42], 1.0
	v_fma_f64 v[41:42], v[41:42], v[43:44], v[41:42]
	s_delay_alu instid0(VALU_DEP_1) | instskip(NEXT) | instid1(VALU_DEP_1)
	v_mul_f64 v[43:44], v[45:46], v[41:42]
	v_fma_f64 v[39:40], -v[39:40], v[43:44], v[45:46]
	s_delay_alu instid0(VALU_DEP_1) | instskip(SKIP_2) | instid1(VALU_DEP_3)
	v_div_fmas_f64 v[39:40], v[39:40], v[41:42], v[43:44]
	v_mul_f64 v[41:42], v[7:8], v[3:4]
	v_mul_f64 v[43:44], v[7:8], -v[1:2]
	v_div_fixup_f64 v[37:38], v[39:40], v[37:38], 1.0
	s_delay_alu instid0(VALU_DEP_3) | instskip(NEXT) | instid1(VALU_DEP_3)
	v_fma_f64 v[1:2], v[1:2], v[5:6], v[41:42]
	v_fma_f64 v[3:4], v[3:4], v[5:6], v[43:44]
	s_delay_alu instid0(VALU_DEP_2) | instskip(NEXT) | instid1(VALU_DEP_2)
	v_mul_f64 v[1:2], v[37:38], v[1:2]
	v_mul_f64 v[3:4], v[37:38], v[3:4]
.LBB57_17:                              ;   in Loop: Header=BB57_9 Depth=2
	s_or_b32 exec_lo, exec_lo, s3
	v_add_f64 v[22:23], v[22:23], -v[9:10]
	v_add_f64 v[9:10], v[26:27], -v[11:12]
	s_mov_b32 s36, exec_lo
	v_cmpx_lt_i32_e64 v24, v36
	s_cbranch_execnz .LBB57_30
; %bb.18:                               ;   in Loop: Header=BB57_9 Depth=2
	s_or_b32 exec_lo, exec_lo, s36
	s_delay_alu instid0(SALU_CYCLE_1)
	s_mov_b32 s36, exec_lo
	v_cmpx_lt_i32_e64 v20, v33
	s_cbranch_execnz .LBB57_42
.LBB57_19:                              ;   in Loop: Header=BB57_9 Depth=2
	s_or_b32 exec_lo, exec_lo, s36
	s_delay_alu instid0(SALU_CYCLE_1)
	s_mov_b32 s3, exec_lo
	v_cmpx_eq_u32_e64 v15, v19
	s_cbranch_execz .LBB57_21
.LBB57_20:                              ;   in Loop: Header=BB57_9 Depth=2
	s_waitcnt vmcnt(0)
	s_delay_alu instid0(VALU_DEP_3) | instskip(NEXT) | instid1(VALU_DEP_3)
	v_add_f64 v[22:23], v[5:6], v[22:23]
	v_add_f64 v[9:10], v[7:8], v[9:10]
.LBB57_21:                              ;   in Loop: Header=BB57_9 Depth=2
	s_or_b32 exec_lo, exec_lo, s3
	s_delay_alu instid0(VALU_DEP_2) | instskip(NEXT) | instid1(VALU_DEP_2)
	v_cmp_gt_f64_e32 vcc_lo, 0, v[22:23]
	v_cmp_gt_f64_e64 s3, 0, v[9:10]
	s_waitcnt vmcnt(0)
	v_xor_b32_e32 v5, 0x80000000, v23
	v_xor_b32_e32 v6, 0x80000000, v10
	s_delay_alu instid0(VALU_DEP_2) | instskip(NEXT) | instid1(VALU_DEP_2)
	v_dual_cndmask_b32 v8, v23, v5 :: v_dual_cndmask_b32 v7, v22, v22
	v_cndmask_b32_e64 v12, v10, v6, s3
	v_cndmask_b32_e64 v11, v9, v9, s3
	s_mov_b32 s3, exec_lo
                                        ; implicit-def: $vgpr5_vgpr6
	s_delay_alu instid0(VALU_DEP_1)
	v_cmpx_ngt_f64_e32 v[7:8], v[11:12]
	s_xor_b32 s3, exec_lo, s3
	s_cbranch_execz .LBB57_25
; %bb.22:                               ;   in Loop: Header=BB57_9 Depth=2
	v_mov_b32_e32 v5, 0
	v_mov_b32_e32 v6, 0
	s_mov_b32 s36, exec_lo
	v_cmpx_neq_f64_e32 0, v[9:10]
	s_cbranch_execz .LBB57_24
; %bb.23:                               ;   in Loop: Header=BB57_9 Depth=2
	v_div_scale_f64 v[5:6], null, v[11:12], v[11:12], v[7:8]
	v_div_scale_f64 v[21:22], vcc_lo, v[7:8], v[11:12], v[7:8]
	s_delay_alu instid0(VALU_DEP_2) | instskip(SKIP_2) | instid1(VALU_DEP_1)
	v_rcp_f64_e32 v[9:10], v[5:6]
	s_waitcnt_depctr 0xfff
	v_fma_f64 v[19:20], -v[5:6], v[9:10], 1.0
	v_fma_f64 v[9:10], v[9:10], v[19:20], v[9:10]
	s_delay_alu instid0(VALU_DEP_1) | instskip(NEXT) | instid1(VALU_DEP_1)
	v_fma_f64 v[19:20], -v[5:6], v[9:10], 1.0
	v_fma_f64 v[9:10], v[9:10], v[19:20], v[9:10]
	s_delay_alu instid0(VALU_DEP_1) | instskip(NEXT) | instid1(VALU_DEP_1)
	v_mul_f64 v[19:20], v[21:22], v[9:10]
	v_fma_f64 v[5:6], -v[5:6], v[19:20], v[21:22]
	s_delay_alu instid0(VALU_DEP_1) | instskip(NEXT) | instid1(VALU_DEP_1)
	v_div_fmas_f64 v[5:6], v[5:6], v[9:10], v[19:20]
	v_div_fixup_f64 v[5:6], v[5:6], v[11:12], v[7:8]
	s_delay_alu instid0(VALU_DEP_1) | instskip(NEXT) | instid1(VALU_DEP_1)
	v_fma_f64 v[5:6], v[5:6], v[5:6], 1.0
	v_cmp_gt_f64_e32 vcc_lo, 0x10000000, v[5:6]
	v_cndmask_b32_e64 v7, 0, 1, vcc_lo
	s_delay_alu instid0(VALU_DEP_1) | instskip(NEXT) | instid1(VALU_DEP_1)
	v_lshlrev_b32_e32 v7, 8, v7
	v_ldexp_f64 v[5:6], v[5:6], v7
	s_delay_alu instid0(VALU_DEP_1) | instskip(SKIP_3) | instid1(VALU_DEP_1)
	v_rsq_f64_e32 v[7:8], v[5:6]
	s_waitcnt_depctr 0xfff
	v_mul_f64 v[9:10], v[5:6], v[7:8]
	v_mul_f64 v[7:8], v[7:8], 0.5
	v_fma_f64 v[19:20], -v[7:8], v[9:10], 0.5
	s_delay_alu instid0(VALU_DEP_1) | instskip(SKIP_1) | instid1(VALU_DEP_2)
	v_fma_f64 v[9:10], v[9:10], v[19:20], v[9:10]
	v_fma_f64 v[7:8], v[7:8], v[19:20], v[7:8]
	v_fma_f64 v[19:20], -v[9:10], v[9:10], v[5:6]
	s_delay_alu instid0(VALU_DEP_1) | instskip(NEXT) | instid1(VALU_DEP_1)
	v_fma_f64 v[9:10], v[19:20], v[7:8], v[9:10]
	v_fma_f64 v[19:20], -v[9:10], v[9:10], v[5:6]
	s_delay_alu instid0(VALU_DEP_1) | instskip(SKIP_2) | instid1(VALU_DEP_2)
	v_fma_f64 v[7:8], v[19:20], v[7:8], v[9:10]
	v_cndmask_b32_e64 v9, 0, 0xffffff80, vcc_lo
	v_cmp_class_f64_e64 vcc_lo, v[5:6], 0x260
	v_ldexp_f64 v[7:8], v[7:8], v9
	s_delay_alu instid0(VALU_DEP_1) | instskip(NEXT) | instid1(VALU_DEP_1)
	v_dual_cndmask_b32 v6, v8, v6 :: v_dual_cndmask_b32 v5, v7, v5
	v_mul_f64 v[5:6], v[11:12], v[5:6]
.LBB57_24:                              ;   in Loop: Header=BB57_9 Depth=2
	s_or_b32 exec_lo, exec_lo, s36
                                        ; implicit-def: $vgpr7_vgpr8
                                        ; implicit-def: $vgpr11_vgpr12
.LBB57_25:                              ;   in Loop: Header=BB57_9 Depth=2
	s_and_not1_saveexec_b32 s3, s3
	s_cbranch_execz .LBB57_27
; %bb.26:                               ;   in Loop: Header=BB57_9 Depth=2
	v_div_scale_f64 v[5:6], null, v[7:8], v[7:8], v[11:12]
	v_div_scale_f64 v[21:22], vcc_lo, v[11:12], v[7:8], v[11:12]
	s_delay_alu instid0(VALU_DEP_2) | instskip(SKIP_2) | instid1(VALU_DEP_1)
	v_rcp_f64_e32 v[9:10], v[5:6]
	s_waitcnt_depctr 0xfff
	v_fma_f64 v[19:20], -v[5:6], v[9:10], 1.0
	v_fma_f64 v[9:10], v[9:10], v[19:20], v[9:10]
	s_delay_alu instid0(VALU_DEP_1) | instskip(NEXT) | instid1(VALU_DEP_1)
	v_fma_f64 v[19:20], -v[5:6], v[9:10], 1.0
	v_fma_f64 v[9:10], v[9:10], v[19:20], v[9:10]
	s_delay_alu instid0(VALU_DEP_1) | instskip(NEXT) | instid1(VALU_DEP_1)
	v_mul_f64 v[19:20], v[21:22], v[9:10]
	v_fma_f64 v[5:6], -v[5:6], v[19:20], v[21:22]
	s_delay_alu instid0(VALU_DEP_1) | instskip(NEXT) | instid1(VALU_DEP_1)
	v_div_fmas_f64 v[5:6], v[5:6], v[9:10], v[19:20]
	v_div_fixup_f64 v[5:6], v[5:6], v[7:8], v[11:12]
	s_delay_alu instid0(VALU_DEP_1) | instskip(NEXT) | instid1(VALU_DEP_1)
	v_fma_f64 v[5:6], v[5:6], v[5:6], 1.0
	v_cmp_gt_f64_e32 vcc_lo, 0x10000000, v[5:6]
	v_cndmask_b32_e64 v9, 0, 1, vcc_lo
	s_delay_alu instid0(VALU_DEP_1) | instskip(NEXT) | instid1(VALU_DEP_1)
	v_lshlrev_b32_e32 v9, 8, v9
	v_ldexp_f64 v[5:6], v[5:6], v9
	s_delay_alu instid0(VALU_DEP_1) | instskip(SKIP_3) | instid1(VALU_DEP_1)
	v_rsq_f64_e32 v[9:10], v[5:6]
	s_waitcnt_depctr 0xfff
	v_mul_f64 v[11:12], v[5:6], v[9:10]
	v_mul_f64 v[9:10], v[9:10], 0.5
	v_fma_f64 v[19:20], -v[9:10], v[11:12], 0.5
	s_delay_alu instid0(VALU_DEP_1) | instskip(SKIP_1) | instid1(VALU_DEP_2)
	v_fma_f64 v[11:12], v[11:12], v[19:20], v[11:12]
	v_fma_f64 v[9:10], v[9:10], v[19:20], v[9:10]
	v_fma_f64 v[19:20], -v[11:12], v[11:12], v[5:6]
	s_delay_alu instid0(VALU_DEP_1) | instskip(NEXT) | instid1(VALU_DEP_1)
	v_fma_f64 v[11:12], v[19:20], v[9:10], v[11:12]
	v_fma_f64 v[19:20], -v[11:12], v[11:12], v[5:6]
	s_delay_alu instid0(VALU_DEP_1) | instskip(SKIP_2) | instid1(VALU_DEP_2)
	v_fma_f64 v[9:10], v[19:20], v[9:10], v[11:12]
	v_cndmask_b32_e64 v11, 0, 0xffffff80, vcc_lo
	v_cmp_class_f64_e64 vcc_lo, v[5:6], 0x260
	v_ldexp_f64 v[9:10], v[9:10], v11
	s_delay_alu instid0(VALU_DEP_1) | instskip(NEXT) | instid1(VALU_DEP_1)
	v_dual_cndmask_b32 v6, v10, v6 :: v_dual_cndmask_b32 v5, v9, v5
	v_mul_f64 v[5:6], v[7:8], v[5:6]
.LBB57_27:                              ;   in Loop: Header=BB57_9 Depth=2
	s_or_b32 exec_lo, exec_lo, s3
	v_cmp_gt_f64_e32 vcc_lo, 0, v[1:2]
	v_cmp_gt_f64_e64 s3, 0, v[3:4]
	v_xor_b32_e32 v7, 0x80000000, v2
	v_xor_b32_e32 v9, 0x80000000, v4
                                        ; implicit-def: $vgpr11_vgpr12
	s_delay_alu instid0(VALU_DEP_2) | instskip(NEXT) | instid1(VALU_DEP_2)
	v_dual_cndmask_b32 v8, v2, v7 :: v_dual_cndmask_b32 v7, v1, v1
	v_cndmask_b32_e64 v10, v4, v9, s3
	v_cndmask_b32_e64 v9, v3, v3, s3
	s_mov_b32 s3, exec_lo
	s_delay_alu instid0(VALU_DEP_1)
	v_cmpx_ngt_f64_e32 v[7:8], v[9:10]
	s_xor_b32 s3, exec_lo, s3
	s_cbranch_execnz .LBB57_34
; %bb.28:                               ;   in Loop: Header=BB57_9 Depth=2
	s_and_not1_saveexec_b32 s3, s3
	s_cbranch_execnz .LBB57_37
.LBB57_29:                              ;   in Loop: Header=BB57_9 Depth=2
	s_or_b32 exec_lo, exec_lo, s3
	s_delay_alu instid0(VALU_DEP_1) | instskip(NEXT) | instid1(VALU_DEP_1)
	v_cmp_class_f64_e64 s36, v[11:12], 0x1f8
	s_and_saveexec_b32 s3, s36
	s_cbranch_execz .LBB57_8
	s_branch .LBB57_38
.LBB57_30:                              ;   in Loop: Header=BB57_9 Depth=2
	v_ashrrev_i32_e32 v25, 31, v24
	s_mov_b32 s38, 0
                                        ; implicit-def: $sgpr37
                                        ; implicit-def: $sgpr40
                                        ; implicit-def: $sgpr39
	s_delay_alu instid0(VALU_DEP_1) | instskip(NEXT) | instid1(VALU_DEP_1)
	v_lshlrev_b64 v[11:12], 2, v[24:25]
	v_add_co_u32 v11, vcc_lo, s6, v11
	s_delay_alu instid0(VALU_DEP_2)
	v_add_co_ci_u32_e32 v12, vcc_lo, s7, v12, vcc_lo
	s_set_inst_prefetch_distance 0x1
	s_branch .LBB57_32
	.p2align	6
.LBB57_31:                              ;   in Loop: Header=BB57_32 Depth=3
	s_or_b32 exec_lo, exec_lo, s41
	s_delay_alu instid0(SALU_CYCLE_1) | instskip(NEXT) | instid1(SALU_CYCLE_1)
	s_and_b32 s3, exec_lo, s40
	s_or_b32 s38, s3, s38
	s_and_not1_b32 s3, s37, exec_lo
	s_and_b32 s37, s39, exec_lo
	s_delay_alu instid0(SALU_CYCLE_1)
	s_or_b32 s37, s3, s37
	s_and_not1_b32 exec_lo, exec_lo, s38
	s_cbranch_execz .LBB57_39
.LBB57_32:                              ;   Parent Loop BB57_5 Depth=1
                                        ;     Parent Loop BB57_9 Depth=2
                                        ; =>    This Inner Loop Header: Depth=3
	global_load_b32 v21, v[11:12], off
	v_dual_mov_b32 v27, v25 :: v_dual_mov_b32 v26, v24
	s_or_b32 s39, s39, exec_lo
	s_or_b32 s40, s40, exec_lo
	s_mov_b32 s41, exec_lo
                                        ; implicit-def: $vgpr24_vgpr25
	s_waitcnt vmcnt(0)
	v_subrev_nc_u32_e32 v21, s30, v21
	s_delay_alu instid0(VALU_DEP_1)
	v_cmpx_ne_u32_e64 v21, v15
	s_cbranch_execz .LBB57_31
; %bb.33:                               ;   in Loop: Header=BB57_32 Depth=3
	v_add_co_u32 v24, vcc_lo, v26, 1
	v_add_co_ci_u32_e32 v25, vcc_lo, 0, v27, vcc_lo
	v_add_co_u32 v11, s3, v11, 4
	s_delay_alu instid0(VALU_DEP_3) | instskip(SKIP_4) | instid1(SALU_CYCLE_1)
	v_cmp_ge_i32_e32 vcc_lo, v24, v36
	v_add_co_ci_u32_e64 v12, s3, 0, v12, s3
	s_and_not1_b32 s3, s40, exec_lo
	s_and_not1_b32 s39, s39, exec_lo
	s_and_b32 s40, vcc_lo, exec_lo
	s_or_b32 s40, s3, s40
	s_branch .LBB57_31
.LBB57_34:                              ;   in Loop: Header=BB57_9 Depth=2
	v_mov_b32_e32 v11, 0
	v_mov_b32_e32 v12, 0
	s_mov_b32 s36, exec_lo
	v_cmpx_neq_f64_e32 0, v[3:4]
	s_cbranch_execz .LBB57_36
; %bb.35:                               ;   in Loop: Header=BB57_9 Depth=2
	v_div_scale_f64 v[11:12], null, v[9:10], v[9:10], v[7:8]
	v_div_scale_f64 v[23:24], vcc_lo, v[7:8], v[9:10], v[7:8]
	s_delay_alu instid0(VALU_DEP_2) | instskip(SKIP_2) | instid1(VALU_DEP_1)
	v_rcp_f64_e32 v[19:20], v[11:12]
	s_waitcnt_depctr 0xfff
	v_fma_f64 v[21:22], -v[11:12], v[19:20], 1.0
	v_fma_f64 v[19:20], v[19:20], v[21:22], v[19:20]
	s_delay_alu instid0(VALU_DEP_1) | instskip(NEXT) | instid1(VALU_DEP_1)
	v_fma_f64 v[21:22], -v[11:12], v[19:20], 1.0
	v_fma_f64 v[19:20], v[19:20], v[21:22], v[19:20]
	s_delay_alu instid0(VALU_DEP_1) | instskip(NEXT) | instid1(VALU_DEP_1)
	v_mul_f64 v[21:22], v[23:24], v[19:20]
	v_fma_f64 v[11:12], -v[11:12], v[21:22], v[23:24]
	s_delay_alu instid0(VALU_DEP_1) | instskip(NEXT) | instid1(VALU_DEP_1)
	v_div_fmas_f64 v[11:12], v[11:12], v[19:20], v[21:22]
	v_div_fixup_f64 v[7:8], v[11:12], v[9:10], v[7:8]
	s_delay_alu instid0(VALU_DEP_1) | instskip(NEXT) | instid1(VALU_DEP_1)
	v_fma_f64 v[7:8], v[7:8], v[7:8], 1.0
	v_cmp_gt_f64_e32 vcc_lo, 0x10000000, v[7:8]
	v_cndmask_b32_e64 v11, 0, 1, vcc_lo
	s_delay_alu instid0(VALU_DEP_1) | instskip(NEXT) | instid1(VALU_DEP_1)
	v_lshlrev_b32_e32 v11, 8, v11
	v_ldexp_f64 v[7:8], v[7:8], v11
	s_delay_alu instid0(VALU_DEP_1) | instskip(SKIP_3) | instid1(VALU_DEP_1)
	v_rsq_f64_e32 v[11:12], v[7:8]
	s_waitcnt_depctr 0xfff
	v_mul_f64 v[19:20], v[7:8], v[11:12]
	v_mul_f64 v[11:12], v[11:12], 0.5
	v_fma_f64 v[21:22], -v[11:12], v[19:20], 0.5
	s_delay_alu instid0(VALU_DEP_1) | instskip(SKIP_1) | instid1(VALU_DEP_2)
	v_fma_f64 v[19:20], v[19:20], v[21:22], v[19:20]
	v_fma_f64 v[11:12], v[11:12], v[21:22], v[11:12]
	v_fma_f64 v[21:22], -v[19:20], v[19:20], v[7:8]
	s_delay_alu instid0(VALU_DEP_1) | instskip(NEXT) | instid1(VALU_DEP_1)
	v_fma_f64 v[19:20], v[21:22], v[11:12], v[19:20]
	v_fma_f64 v[21:22], -v[19:20], v[19:20], v[7:8]
	s_delay_alu instid0(VALU_DEP_1) | instskip(SKIP_2) | instid1(VALU_DEP_2)
	v_fma_f64 v[11:12], v[21:22], v[11:12], v[19:20]
	v_cndmask_b32_e64 v19, 0, 0xffffff80, vcc_lo
	v_cmp_class_f64_e64 vcc_lo, v[7:8], 0x260
	v_ldexp_f64 v[11:12], v[11:12], v19
	s_delay_alu instid0(VALU_DEP_1) | instskip(NEXT) | instid1(VALU_DEP_1)
	v_dual_cndmask_b32 v8, v12, v8 :: v_dual_cndmask_b32 v7, v11, v7
	v_mul_f64 v[11:12], v[9:10], v[7:8]
.LBB57_36:                              ;   in Loop: Header=BB57_9 Depth=2
	s_or_b32 exec_lo, exec_lo, s36
                                        ; implicit-def: $vgpr7_vgpr8
                                        ; implicit-def: $vgpr9_vgpr10
	s_and_not1_saveexec_b32 s3, s3
	s_cbranch_execz .LBB57_29
.LBB57_37:                              ;   in Loop: Header=BB57_9 Depth=2
	v_div_scale_f64 v[11:12], null, v[7:8], v[7:8], v[9:10]
	v_div_scale_f64 v[23:24], vcc_lo, v[9:10], v[7:8], v[9:10]
	s_delay_alu instid0(VALU_DEP_2) | instskip(SKIP_2) | instid1(VALU_DEP_1)
	v_rcp_f64_e32 v[19:20], v[11:12]
	s_waitcnt_depctr 0xfff
	v_fma_f64 v[21:22], -v[11:12], v[19:20], 1.0
	v_fma_f64 v[19:20], v[19:20], v[21:22], v[19:20]
	s_delay_alu instid0(VALU_DEP_1) | instskip(NEXT) | instid1(VALU_DEP_1)
	v_fma_f64 v[21:22], -v[11:12], v[19:20], 1.0
	v_fma_f64 v[19:20], v[19:20], v[21:22], v[19:20]
	s_delay_alu instid0(VALU_DEP_1) | instskip(NEXT) | instid1(VALU_DEP_1)
	v_mul_f64 v[21:22], v[23:24], v[19:20]
	v_fma_f64 v[11:12], -v[11:12], v[21:22], v[23:24]
	s_delay_alu instid0(VALU_DEP_1) | instskip(NEXT) | instid1(VALU_DEP_1)
	v_div_fmas_f64 v[11:12], v[11:12], v[19:20], v[21:22]
	v_div_fixup_f64 v[9:10], v[11:12], v[7:8], v[9:10]
	s_delay_alu instid0(VALU_DEP_1) | instskip(NEXT) | instid1(VALU_DEP_1)
	v_fma_f64 v[9:10], v[9:10], v[9:10], 1.0
	v_cmp_gt_f64_e32 vcc_lo, 0x10000000, v[9:10]
	v_cndmask_b32_e64 v11, 0, 1, vcc_lo
	s_delay_alu instid0(VALU_DEP_1) | instskip(NEXT) | instid1(VALU_DEP_1)
	v_lshlrev_b32_e32 v11, 8, v11
	v_ldexp_f64 v[9:10], v[9:10], v11
	s_delay_alu instid0(VALU_DEP_1) | instskip(SKIP_3) | instid1(VALU_DEP_1)
	v_rsq_f64_e32 v[11:12], v[9:10]
	s_waitcnt_depctr 0xfff
	v_mul_f64 v[19:20], v[9:10], v[11:12]
	v_mul_f64 v[11:12], v[11:12], 0.5
	v_fma_f64 v[21:22], -v[11:12], v[19:20], 0.5
	s_delay_alu instid0(VALU_DEP_1) | instskip(SKIP_1) | instid1(VALU_DEP_2)
	v_fma_f64 v[19:20], v[19:20], v[21:22], v[19:20]
	v_fma_f64 v[11:12], v[11:12], v[21:22], v[11:12]
	v_fma_f64 v[21:22], -v[19:20], v[19:20], v[9:10]
	s_delay_alu instid0(VALU_DEP_1) | instskip(NEXT) | instid1(VALU_DEP_1)
	v_fma_f64 v[19:20], v[21:22], v[11:12], v[19:20]
	v_fma_f64 v[21:22], -v[19:20], v[19:20], v[9:10]
	s_delay_alu instid0(VALU_DEP_1) | instskip(SKIP_2) | instid1(VALU_DEP_2)
	v_fma_f64 v[11:12], v[21:22], v[11:12], v[19:20]
	v_cndmask_b32_e64 v19, 0, 0xffffff80, vcc_lo
	v_cmp_class_f64_e64 vcc_lo, v[9:10], 0x260
	v_ldexp_f64 v[11:12], v[11:12], v19
	s_delay_alu instid0(VALU_DEP_1) | instskip(NEXT) | instid1(VALU_DEP_1)
	v_dual_cndmask_b32 v10, v12, v10 :: v_dual_cndmask_b32 v9, v11, v9
	v_mul_f64 v[11:12], v[7:8], v[9:10]
	s_or_b32 exec_lo, exec_lo, s3
	s_delay_alu instid0(VALU_DEP_1) | instskip(NEXT) | instid1(VALU_DEP_1)
	v_cmp_class_f64_e64 s36, v[11:12], 0x1f8
	s_and_saveexec_b32 s3, s36
	s_cbranch_execz .LBB57_8
.LBB57_38:                              ;   in Loop: Header=BB57_9 Depth=2
	v_add_co_u32 v7, vcc_lo, s10, v17
	v_add_co_ci_u32_e32 v8, vcc_lo, s11, v18, vcc_lo
	global_store_b128 v[7:8], v[1:4], off
	s_branch .LBB57_8
.LBB57_39:                              ;   in Loop: Header=BB57_9 Depth=2
	s_set_inst_prefetch_distance 0x2
	s_or_b32 exec_lo, exec_lo, s38
	s_and_saveexec_b32 s3, s37
	s_delay_alu instid0(SALU_CYCLE_1)
	s_xor_b32 s3, exec_lo, s3
	s_cbranch_execz .LBB57_41
; %bb.40:                               ;   in Loop: Header=BB57_9 Depth=2
	v_lshlrev_b64 v[11:12], 2, v[26:27]
	s_delay_alu instid0(VALU_DEP_1) | instskip(NEXT) | instid1(VALU_DEP_2)
	v_add_co_u32 v11, vcc_lo, s8, v11
	v_add_co_ci_u32_e32 v12, vcc_lo, s9, v12, vcc_lo
	global_load_b32 v11, v[11:12], off
	s_waitcnt vmcnt(0)
	v_ashrrev_i32_e32 v12, 31, v11
	s_delay_alu instid0(VALU_DEP_1) | instskip(NEXT) | instid1(VALU_DEP_1)
	v_lshlrev_b64 v[11:12], 4, v[11:12]
	v_add_co_u32 v11, vcc_lo, s10, v11
	s_delay_alu instid0(VALU_DEP_2)
	v_add_co_ci_u32_e32 v12, vcc_lo, s11, v12, vcc_lo
	global_load_b128 v[24:27], v[11:12], off
	s_waitcnt vmcnt(0)
	v_add_f64 v[22:23], v[22:23], v[24:25]
	v_add_f64 v[9:10], v[9:10], v[26:27]
.LBB57_41:                              ;   in Loop: Header=BB57_9 Depth=2
	s_or_b32 exec_lo, exec_lo, s3
	s_delay_alu instid0(SALU_CYCLE_1) | instskip(NEXT) | instid1(SALU_CYCLE_1)
	s_or_b32 exec_lo, exec_lo, s36
	s_mov_b32 s36, exec_lo
	v_cmpx_lt_i32_e64 v20, v33
	s_cbranch_execz .LBB57_19
.LBB57_42:                              ;   in Loop: Header=BB57_9 Depth=2
	v_ashrrev_i32_e32 v21, 31, v20
	s_mov_b32 s38, 0
                                        ; implicit-def: $sgpr37
                                        ; implicit-def: $sgpr40
                                        ; implicit-def: $sgpr39
	s_delay_alu instid0(VALU_DEP_1) | instskip(NEXT) | instid1(VALU_DEP_1)
	v_lshlrev_b64 v[11:12], 2, v[20:21]
	v_add_co_u32 v11, vcc_lo, s16, v11
	s_delay_alu instid0(VALU_DEP_2)
	v_add_co_ci_u32_e32 v12, vcc_lo, s17, v12, vcc_lo
	s_set_inst_prefetch_distance 0x1
	s_branch .LBB57_44
	.p2align	6
.LBB57_43:                              ;   in Loop: Header=BB57_44 Depth=3
	s_or_b32 exec_lo, exec_lo, s41
	s_delay_alu instid0(SALU_CYCLE_1) | instskip(NEXT) | instid1(SALU_CYCLE_1)
	s_and_b32 s3, exec_lo, s40
	s_or_b32 s38, s3, s38
	s_and_not1_b32 s3, s37, exec_lo
	s_and_b32 s37, s39, exec_lo
	s_delay_alu instid0(SALU_CYCLE_1)
	s_or_b32 s37, s3, s37
	s_and_not1_b32 exec_lo, exec_lo, s38
	s_cbranch_execz .LBB57_46
.LBB57_44:                              ;   Parent Loop BB57_5 Depth=1
                                        ;     Parent Loop BB57_9 Depth=2
                                        ; =>    This Inner Loop Header: Depth=3
	global_load_b32 v26, v[11:12], off
	v_dual_mov_b32 v25, v21 :: v_dual_mov_b32 v24, v20
	s_or_b32 s39, s39, exec_lo
	s_or_b32 s40, s40, exec_lo
	s_mov_b32 s41, exec_lo
                                        ; implicit-def: $vgpr20_vgpr21
	s_waitcnt vmcnt(0)
	v_cmpx_ne_u32_e64 v26, v35
	s_cbranch_execz .LBB57_43
; %bb.45:                               ;   in Loop: Header=BB57_44 Depth=3
	v_add_co_u32 v20, vcc_lo, v24, 1
	v_add_co_ci_u32_e32 v21, vcc_lo, 0, v25, vcc_lo
	v_add_co_u32 v11, s3, v11, 4
	s_delay_alu instid0(VALU_DEP_3) | instskip(SKIP_4) | instid1(SALU_CYCLE_1)
	v_cmp_ge_i32_e32 vcc_lo, v20, v33
	v_add_co_ci_u32_e64 v12, s3, 0, v12, s3
	s_and_not1_b32 s3, s40, exec_lo
	s_and_not1_b32 s39, s39, exec_lo
	s_and_b32 s40, vcc_lo, exec_lo
	s_or_b32 s40, s3, s40
	s_branch .LBB57_43
.LBB57_46:                              ;   in Loop: Header=BB57_9 Depth=2
	s_set_inst_prefetch_distance 0x2
	s_or_b32 exec_lo, exec_lo, s38
	s_and_saveexec_b32 s3, s37
	s_delay_alu instid0(SALU_CYCLE_1)
	s_xor_b32 s3, exec_lo, s3
	s_cbranch_execz .LBB57_48
; %bb.47:                               ;   in Loop: Header=BB57_9 Depth=2
	v_lshlrev_b64 v[11:12], 4, v[24:25]
	s_delay_alu instid0(VALU_DEP_1) | instskip(NEXT) | instid1(VALU_DEP_2)
	v_add_co_u32 v11, vcc_lo, s10, v11
	v_add_co_ci_u32_e32 v12, vcc_lo, s11, v12, vcc_lo
	global_load_b128 v[24:27], v[11:12], off
	s_waitcnt vmcnt(0)
	v_fma_f64 v[11:12], v[24:25], v[5:6], v[22:23]
	v_fma_f64 v[9:10], v[26:27], v[5:6], v[9:10]
	s_delay_alu instid0(VALU_DEP_2) | instskip(NEXT) | instid1(VALU_DEP_2)
	v_fma_f64 v[22:23], -v[26:27], v[7:8], v[11:12]
	v_fma_f64 v[9:10], v[24:25], v[7:8], v[9:10]
.LBB57_48:                              ;   in Loop: Header=BB57_9 Depth=2
	s_or_b32 exec_lo, exec_lo, s3
	s_delay_alu instid0(SALU_CYCLE_1) | instskip(NEXT) | instid1(SALU_CYCLE_1)
	s_or_b32 exec_lo, exec_lo, s36
	s_mov_b32 s3, exec_lo
	v_cmpx_eq_u32_e64 v15, v19
	s_cbranch_execnz .LBB57_20
	s_branch .LBB57_21
.LBB57_49:
	s_or_b32 exec_lo, exec_lo, s29
	v_mbcnt_lo_u32_b32 v1, -1, 0
	s_mov_b32 s2, exec_lo
	s_delay_alu instid0(VALU_DEP_1) | instskip(NEXT) | instid1(VALU_DEP_1)
	v_xor_b32_e32 v2, 1, v1
	v_cmp_gt_i32_e32 vcc_lo, 32, v2
	v_cndmask_b32_e32 v1, v1, v2, vcc_lo
	s_delay_alu instid0(VALU_DEP_1)
	v_lshlrev_b32_e32 v2, 2, v1
	ds_bpermute_b32 v1, v2, v13
	ds_bpermute_b32 v2, v2, v14
	v_cmpx_ne_u32_e32 0, v29
	s_cbranch_execz .LBB57_51
; %bb.50:
	s_waitcnt lgkmcnt(0)
	v_cmp_lt_f64_e32 vcc_lo, v[13:14], v[1:2]
	v_dual_cndmask_b32 v2, v14, v2 :: v_dual_lshlrev_b32 v3, 3, v28
	v_cndmask_b32_e32 v1, v13, v1, vcc_lo
	ds_store_b64 v3, v[1:2]
.LBB57_51:
	s_or_b32 exec_lo, exec_lo, s2
	s_waitcnt lgkmcnt(1)
	v_lshlrev_b32_e32 v1, 3, v0
	s_mov_b32 s2, exec_lo
	s_waitcnt lgkmcnt(0)
	s_waitcnt_vscnt null, 0x0
	s_barrier
	buffer_gl0_inv
	v_cmpx_gt_u32_e32 0x100, v0
	s_cbranch_execz .LBB57_53
; %bb.52:
	ds_load_2addr_stride64_b64 v[2:5], v1 offset1:4
	s_waitcnt lgkmcnt(0)
	v_cmp_lt_f64_e32 vcc_lo, v[2:3], v[4:5]
	v_dual_cndmask_b32 v3, v3, v5 :: v_dual_cndmask_b32 v2, v2, v4
	ds_store_b64 v1, v[2:3]
.LBB57_53:
	s_or_b32 exec_lo, exec_lo, s2
	s_delay_alu instid0(SALU_CYCLE_1)
	s_mov_b32 s2, exec_lo
	s_waitcnt lgkmcnt(0)
	s_barrier
	buffer_gl0_inv
	v_cmpx_gt_u32_e32 0x80, v0
	s_cbranch_execz .LBB57_55
; %bb.54:
	ds_load_2addr_stride64_b64 v[2:5], v1 offset1:2
	s_waitcnt lgkmcnt(0)
	v_cmp_lt_f64_e32 vcc_lo, v[2:3], v[4:5]
	v_dual_cndmask_b32 v3, v3, v5 :: v_dual_cndmask_b32 v2, v2, v4
	ds_store_b64 v1, v[2:3]
.LBB57_55:
	s_or_b32 exec_lo, exec_lo, s2
	s_delay_alu instid0(SALU_CYCLE_1)
	s_mov_b32 s2, exec_lo
	s_waitcnt lgkmcnt(0)
	;; [unrolled: 15-line block ×3, first 2 shown]
	s_barrier
	buffer_gl0_inv
	v_cmpx_gt_u32_e32 32, v0
	s_cbranch_execz .LBB57_59
; %bb.58:
	ds_load_2addr_b64 v[2:5], v1 offset1:32
	s_waitcnt lgkmcnt(0)
	v_cmp_lt_f64_e32 vcc_lo, v[2:3], v[4:5]
	v_dual_cndmask_b32 v3, v3, v5 :: v_dual_cndmask_b32 v2, v2, v4
	ds_store_b64 v1, v[2:3]
.LBB57_59:
	s_or_b32 exec_lo, exec_lo, s2
	s_delay_alu instid0(SALU_CYCLE_1)
	s_mov_b32 s2, exec_lo
	s_waitcnt lgkmcnt(0)
	s_barrier
	buffer_gl0_inv
	v_cmpx_gt_u32_e32 16, v0
	s_cbranch_execz .LBB57_61
; %bb.60:
	ds_load_2addr_b64 v[2:5], v1 offset1:16
	s_waitcnt lgkmcnt(0)
	v_cmp_lt_f64_e32 vcc_lo, v[2:3], v[4:5]
	v_dual_cndmask_b32 v3, v3, v5 :: v_dual_cndmask_b32 v2, v2, v4
	ds_store_b64 v1, v[2:3]
.LBB57_61:
	s_or_b32 exec_lo, exec_lo, s2
	s_delay_alu instid0(SALU_CYCLE_1)
	s_mov_b32 s2, exec_lo
	s_waitcnt lgkmcnt(0)
	;; [unrolled: 15-line block ×4, first 2 shown]
	s_barrier
	buffer_gl0_inv
	v_cmpx_gt_u32_e32 2, v0
	s_cbranch_execz .LBB57_67
; %bb.66:
	ds_load_2addr_b64 v[2:5], v1 offset1:2
	s_waitcnt lgkmcnt(0)
	v_cmp_lt_f64_e32 vcc_lo, v[2:3], v[4:5]
	v_dual_cndmask_b32 v3, v3, v5 :: v_dual_cndmask_b32 v2, v2, v4
	ds_store_b64 v1, v[2:3]
.LBB57_67:
	s_or_b32 exec_lo, exec_lo, s2
	v_cmp_eq_u32_e32 vcc_lo, 0, v0
	s_waitcnt lgkmcnt(0)
	s_barrier
	buffer_gl0_inv
	s_and_saveexec_b32 s3, vcc_lo
	s_cbranch_execz .LBB57_69
; %bb.68:
	v_mov_b32_e32 v4, 0
	ds_load_b128 v[0:3], v4
	s_waitcnt lgkmcnt(0)
	v_cmp_lt_f64_e64 s2, v[0:1], v[2:3]
	s_delay_alu instid0(VALU_DEP_1)
	v_cndmask_b32_e64 v1, v1, v3, s2
	v_cndmask_b32_e64 v0, v0, v2, s2
	ds_store_b64 v4, v[0:1]
.LBB57_69:
	s_or_b32 exec_lo, exec_lo, s3
	s_waitcnt lgkmcnt(0)
	s_barrier
	buffer_gl0_inv
	s_and_saveexec_b32 s2, vcc_lo
	s_cbranch_execz .LBB57_74
; %bb.70:
	s_load_b128 s[4:7], s[0:1], 0x70
	v_mov_b32_e32 v4, 0
	s_brev_b32 s3, 1
	s_mov_b32 s2, 0
	ds_load_b64 v[0:1], v4
	s_waitcnt lgkmcnt(0)
	s_load_b64 s[0:1], s[6:7], 0x0
	global_load_b64 v[2:3], v4, s[4:5] glc
	s_waitcnt lgkmcnt(0)
	v_div_scale_f64 v[5:6], null, s[0:1], s[0:1], v[0:1]
	s_delay_alu instid0(VALU_DEP_1) | instskip(SKIP_2) | instid1(VALU_DEP_1)
	v_rcp_f64_e32 v[7:8], v[5:6]
	s_waitcnt_depctr 0xfff
	v_fma_f64 v[9:10], -v[5:6], v[7:8], 1.0
	v_fma_f64 v[7:8], v[7:8], v[9:10], v[7:8]
	s_delay_alu instid0(VALU_DEP_1) | instskip(NEXT) | instid1(VALU_DEP_1)
	v_fma_f64 v[9:10], -v[5:6], v[7:8], 1.0
	v_fma_f64 v[7:8], v[7:8], v[9:10], v[7:8]
	v_div_scale_f64 v[9:10], vcc_lo, v[0:1], s[0:1], v[0:1]
	s_delay_alu instid0(VALU_DEP_1) | instskip(NEXT) | instid1(VALU_DEP_1)
	v_mul_f64 v[11:12], v[9:10], v[7:8]
	v_fma_f64 v[5:6], -v[5:6], v[11:12], v[9:10]
	s_waitcnt vmcnt(0)
	v_cmp_eq_u64_e64 s6, s[2:3], v[2:3]
                                        ; implicit-def: $sgpr3
	s_delay_alu instid0(VALU_DEP_2) | instskip(NEXT) | instid1(VALU_DEP_1)
	v_div_fmas_f64 v[5:6], v[5:6], v[7:8], v[11:12]
	v_div_fixup_f64 v[0:1], v[5:6], s[0:1], v[0:1]
                                        ; implicit-def: $sgpr1
	s_delay_alu instid0(VALU_DEP_1)
	v_cmp_eq_f64_e32 vcc_lo, 0, v[0:1]
	s_set_inst_prefetch_distance 0x1
	s_branch .LBB57_72
	.p2align	6
.LBB57_71:                              ;   in Loop: Header=BB57_72 Depth=1
	s_or_b32 exec_lo, exec_lo, s7
	s_delay_alu instid0(SALU_CYCLE_1) | instskip(NEXT) | instid1(SALU_CYCLE_1)
	s_and_b32 s0, exec_lo, s1
	s_or_b32 s2, s0, s2
	s_and_not1_b32 s0, s6, exec_lo
	s_and_b32 s6, s3, exec_lo
	s_delay_alu instid0(SALU_CYCLE_1)
	s_or_b32 s6, s0, s6
	s_and_not1_b32 exec_lo, exec_lo, s2
	s_cbranch_execz .LBB57_74
.LBB57_72:                              ; =>This Inner Loop Header: Depth=1
	v_cmp_lt_f64_e64 s0, v[2:3], v[0:1]
	s_and_b32 s7, vcc_lo, s6
	s_and_not1_b32 s3, s3, exec_lo
	s_or_b32 s1, s1, exec_lo
	s_delay_alu instid0(VALU_DEP_1) | instskip(NEXT) | instid1(SALU_CYCLE_1)
	s_or_b32 s0, s0, s7
	s_and_saveexec_b32 s7, s0
	s_cbranch_execz .LBB57_71
; %bb.73:                               ;   in Loop: Header=BB57_72 Depth=1
	global_atomic_cmpswap_b64 v[5:6], v4, v[0:3], s[4:5] glc
	s_and_not1_b32 s3, s3, exec_lo
	s_and_not1_b32 s1, s1, exec_lo
	s_waitcnt vmcnt(0)
	v_cmp_eq_u64_e64 s0, v[5:6], v[2:3]
	s_delay_alu instid0(VALU_DEP_1) | instskip(SKIP_2) | instid1(SALU_CYCLE_1)
	v_cndmask_b32_e64 v3, v6, v3, s0
	v_cndmask_b32_e64 v2, v5, v2, s0
	s_and_b32 s0, s0, exec_lo
	s_or_b32 s1, s1, s0
	s_delay_alu instid0(VALU_DEP_1) | instskip(SKIP_1) | instid1(VALU_DEP_2)
	v_cmp_class_f64_e64 s6, v[2:3], 32
	v_dual_mov_b32 v2, v5 :: v_dual_mov_b32 v3, v6
	s_and_b32 s6, s6, exec_lo
	s_delay_alu instid0(SALU_CYCLE_1)
	s_or_b32 s3, s3, s6
                                        ; implicit-def: $sgpr6
	s_branch .LBB57_71
.LBB57_74:
	s_set_inst_prefetch_distance 0x2
	s_endpgm
	.section	.rodata,"a",@progbits
	.p2align	6, 0x0
	.amdhsa_kernel _ZN9rocsparseL16kernel_calculateILi1024ELi2ELb1E21rocsparse_complex_numIdEiiEEvT4_T3_PKS4_S6_PKS3_PKT2_21rocsparse_index_base_S6_S6_S8_S6_S6_S8_S6_PS9_PNS_15floating_traitsIS9_E6data_tEPKSG_
		.amdhsa_group_segment_fixed_size 4096
		.amdhsa_private_segment_fixed_size 0
		.amdhsa_kernarg_size 128
		.amdhsa_user_sgpr_count 15
		.amdhsa_user_sgpr_dispatch_ptr 0
		.amdhsa_user_sgpr_queue_ptr 0
		.amdhsa_user_sgpr_kernarg_segment_ptr 1
		.amdhsa_user_sgpr_dispatch_id 0
		.amdhsa_user_sgpr_private_segment_size 0
		.amdhsa_wavefront_size32 1
		.amdhsa_uses_dynamic_stack 0
		.amdhsa_enable_private_segment 0
		.amdhsa_system_sgpr_workgroup_id_x 1
		.amdhsa_system_sgpr_workgroup_id_y 0
		.amdhsa_system_sgpr_workgroup_id_z 0
		.amdhsa_system_sgpr_workgroup_info 0
		.amdhsa_system_vgpr_workitem_id 0
		.amdhsa_next_free_vgpr 47
		.amdhsa_next_free_sgpr 42
		.amdhsa_reserve_vcc 1
		.amdhsa_float_round_mode_32 0
		.amdhsa_float_round_mode_16_64 0
		.amdhsa_float_denorm_mode_32 3
		.amdhsa_float_denorm_mode_16_64 3
		.amdhsa_dx10_clamp 1
		.amdhsa_ieee_mode 1
		.amdhsa_fp16_overflow 0
		.amdhsa_workgroup_processor_mode 1
		.amdhsa_memory_ordered 1
		.amdhsa_forward_progress 0
		.amdhsa_shared_vgpr_count 0
		.amdhsa_exception_fp_ieee_invalid_op 0
		.amdhsa_exception_fp_denorm_src 0
		.amdhsa_exception_fp_ieee_div_zero 0
		.amdhsa_exception_fp_ieee_overflow 0
		.amdhsa_exception_fp_ieee_underflow 0
		.amdhsa_exception_fp_ieee_inexact 0
		.amdhsa_exception_int_div_zero 0
	.end_amdhsa_kernel
	.section	.text._ZN9rocsparseL16kernel_calculateILi1024ELi2ELb1E21rocsparse_complex_numIdEiiEEvT4_T3_PKS4_S6_PKS3_PKT2_21rocsparse_index_base_S6_S6_S8_S6_S6_S8_S6_PS9_PNS_15floating_traitsIS9_E6data_tEPKSG_,"axG",@progbits,_ZN9rocsparseL16kernel_calculateILi1024ELi2ELb1E21rocsparse_complex_numIdEiiEEvT4_T3_PKS4_S6_PKS3_PKT2_21rocsparse_index_base_S6_S6_S8_S6_S6_S8_S6_PS9_PNS_15floating_traitsIS9_E6data_tEPKSG_,comdat
.Lfunc_end57:
	.size	_ZN9rocsparseL16kernel_calculateILi1024ELi2ELb1E21rocsparse_complex_numIdEiiEEvT4_T3_PKS4_S6_PKS3_PKT2_21rocsparse_index_base_S6_S6_S8_S6_S6_S8_S6_PS9_PNS_15floating_traitsIS9_E6data_tEPKSG_, .Lfunc_end57-_ZN9rocsparseL16kernel_calculateILi1024ELi2ELb1E21rocsparse_complex_numIdEiiEEvT4_T3_PKS4_S6_PKS3_PKT2_21rocsparse_index_base_S6_S6_S8_S6_S6_S8_S6_PS9_PNS_15floating_traitsIS9_E6data_tEPKSG_
                                        ; -- End function
	.section	.AMDGPU.csdata,"",@progbits
; Kernel info:
; codeLenInByte = 4636
; NumSgprs: 44
; NumVgprs: 47
; ScratchSize: 0
; MemoryBound: 1
; FloatMode: 240
; IeeeMode: 1
; LDSByteSize: 4096 bytes/workgroup (compile time only)
; SGPRBlocks: 5
; VGPRBlocks: 5
; NumSGPRsForWavesPerEU: 44
; NumVGPRsForWavesPerEU: 47
; Occupancy: 16
; WaveLimiterHint : 1
; COMPUTE_PGM_RSRC2:SCRATCH_EN: 0
; COMPUTE_PGM_RSRC2:USER_SGPR: 15
; COMPUTE_PGM_RSRC2:TRAP_HANDLER: 0
; COMPUTE_PGM_RSRC2:TGID_X_EN: 1
; COMPUTE_PGM_RSRC2:TGID_Y_EN: 0
; COMPUTE_PGM_RSRC2:TGID_Z_EN: 0
; COMPUTE_PGM_RSRC2:TIDIG_COMP_CNT: 0
	.section	.text._ZN9rocsparseL16kernel_calculateILi1024ELi4ELb1E21rocsparse_complex_numIdEiiEEvT4_T3_PKS4_S6_PKS3_PKT2_21rocsparse_index_base_S6_S6_S8_S6_S6_S8_S6_PS9_PNS_15floating_traitsIS9_E6data_tEPKSG_,"axG",@progbits,_ZN9rocsparseL16kernel_calculateILi1024ELi4ELb1E21rocsparse_complex_numIdEiiEEvT4_T3_PKS4_S6_PKS3_PKT2_21rocsparse_index_base_S6_S6_S8_S6_S6_S8_S6_PS9_PNS_15floating_traitsIS9_E6data_tEPKSG_,comdat
	.globl	_ZN9rocsparseL16kernel_calculateILi1024ELi4ELb1E21rocsparse_complex_numIdEiiEEvT4_T3_PKS4_S6_PKS3_PKT2_21rocsparse_index_base_S6_S6_S8_S6_S6_S8_S6_PS9_PNS_15floating_traitsIS9_E6data_tEPKSG_ ; -- Begin function _ZN9rocsparseL16kernel_calculateILi1024ELi4ELb1E21rocsparse_complex_numIdEiiEEvT4_T3_PKS4_S6_PKS3_PKT2_21rocsparse_index_base_S6_S6_S8_S6_S6_S8_S6_PS9_PNS_15floating_traitsIS9_E6data_tEPKSG_
	.p2align	8
	.type	_ZN9rocsparseL16kernel_calculateILi1024ELi4ELb1E21rocsparse_complex_numIdEiiEEvT4_T3_PKS4_S6_PKS3_PKT2_21rocsparse_index_base_S6_S6_S8_S6_S6_S8_S6_PS9_PNS_15floating_traitsIS9_E6data_tEPKSG_,@function
_ZN9rocsparseL16kernel_calculateILi1024ELi4ELb1E21rocsparse_complex_numIdEiiEEvT4_T3_PKS4_S6_PKS3_PKT2_21rocsparse_index_base_S6_S6_S8_S6_S6_S8_S6_PS9_PNS_15floating_traitsIS9_E6data_tEPKSG_: ; @_ZN9rocsparseL16kernel_calculateILi1024ELi4ELb1E21rocsparse_complex_numIdEiiEEvT4_T3_PKS4_S6_PKS3_PKT2_21rocsparse_index_base_S6_S6_S8_S6_S6_S8_S6_PS9_PNS_15floating_traitsIS9_E6data_tEPKSG_
; %bb.0:
	s_load_b32 s28, s[0:1], 0x0
	v_lshrrev_b32_e32 v28, 2, v0
	v_mov_b32_e32 v13, 0
	v_dual_mov_b32 v14, 0 :: v_dual_and_b32 v29, 3, v0
	s_mov_b32 s29, exec_lo
	s_delay_alu instid0(VALU_DEP_3) | instskip(SKIP_1) | instid1(VALU_DEP_1)
	v_lshl_or_b32 v30, s15, 10, v28
	s_waitcnt lgkmcnt(0)
	v_cmpx_gt_i32_e64 s28, v30
	s_cbranch_execz .LBB58_49
; %bb.1:
	s_clause 0x3
	s_load_b32 s30, s[0:1], 0x28
	s_load_b256 s[4:11], s[0:1], 0x50
	s_load_b256 s[12:19], s[0:1], 0x30
	;; [unrolled: 1-line block ×3, first 2 shown]
	v_mov_b32_e32 v13, 0
	v_mov_b32_e32 v14, 0
	s_mov_b32 s31, 0
	s_waitcnt lgkmcnt(0)
	v_subrev_nc_u32_e32 v31, s30, v29
	s_branch .LBB58_5
.LBB58_2:                               ;   in Loop: Header=BB58_5 Depth=1
	s_or_b32 exec_lo, exec_lo, s35
.LBB58_3:                               ;   in Loop: Header=BB58_5 Depth=1
	s_delay_alu instid0(SALU_CYCLE_1)
	s_or_b32 exec_lo, exec_lo, s34
.LBB58_4:                               ;   in Loop: Header=BB58_5 Depth=1
	s_delay_alu instid0(SALU_CYCLE_1) | instskip(SKIP_1) | instid1(SALU_CYCLE_1)
	s_or_b32 exec_lo, exec_lo, s33
	s_add_i32 s31, s31, 1
	s_cmp_lg_u32 s31, 4
	s_cbranch_scc0 .LBB58_49
.LBB58_5:                               ; =>This Loop Header: Depth=1
                                        ;     Child Loop BB58_9 Depth 2
                                        ;       Child Loop BB58_12 Depth 3
                                        ;       Child Loop BB58_32 Depth 3
	;; [unrolled: 1-line block ×3, first 2 shown]
	v_lshl_add_u32 v15, s31, 8, v30
	s_mov_b32 s33, exec_lo
	s_delay_alu instid0(VALU_DEP_1)
	v_cmpx_gt_i32_e64 s28, v15
	s_cbranch_execz .LBB58_4
; %bb.6:                                ;   in Loop: Header=BB58_5 Depth=1
	v_ashrrev_i32_e32 v16, 31, v15
	s_mov_b32 s34, exec_lo
	s_delay_alu instid0(VALU_DEP_1) | instskip(NEXT) | instid1(VALU_DEP_1)
	v_lshlrev_b64 v[1:2], 2, v[15:16]
	v_add_co_u32 v3, vcc_lo, s22, v1
	s_delay_alu instid0(VALU_DEP_2)
	v_add_co_ci_u32_e32 v4, vcc_lo, s23, v2, vcc_lo
	v_add_co_u32 v5, vcc_lo, s20, v1
	v_add_co_ci_u32_e32 v6, vcc_lo, s21, v2, vcc_lo
	global_load_b32 v3, v[3:4], off
	global_load_b32 v4, v[5:6], off
	s_waitcnt vmcnt(1)
	v_subrev_nc_u32_e32 v32, s30, v3
	s_waitcnt vmcnt(0)
	v_add_nc_u32_e32 v16, v31, v4
	s_delay_alu instid0(VALU_DEP_1)
	v_cmpx_lt_i32_e64 v16, v32
	s_cbranch_execz .LBB58_3
; %bb.7:                                ;   in Loop: Header=BB58_5 Depth=1
	v_add_co_u32 v3, vcc_lo, s14, v1
	v_add_co_ci_u32_e32 v4, vcc_lo, s15, v2, vcc_lo
	v_add_co_u32 v1, vcc_lo, s12, v1
	v_add_co_ci_u32_e32 v2, vcc_lo, s13, v2, vcc_lo
	s_mov_b32 s35, 0
	global_load_b32 v3, v[3:4], off
	global_load_b32 v1, v[1:2], off
	s_waitcnt vmcnt(1)
	v_subrev_nc_u32_e32 v33, s30, v3
	s_waitcnt vmcnt(0)
	v_subrev_nc_u32_e32 v34, s30, v1
	v_cmp_lt_i32_e64 s2, v1, v3
	s_branch .LBB58_9
.LBB58_8:                               ;   in Loop: Header=BB58_9 Depth=2
	s_or_b32 exec_lo, exec_lo, s3
	v_cmp_nlg_f64_e64 s36, 0x7ff00000, |v[5:6]|
	v_cmp_gt_f64_e32 vcc_lo, v[13:14], v[5:6]
	s_delay_alu instid0(VALU_DEP_2) | instskip(SKIP_2) | instid1(VALU_DEP_2)
	s_or_b32 vcc_lo, s36, vcc_lo
	v_dual_cndmask_b32 v13, v5, v13 :: v_dual_add_nc_u32 v16, 4, v16
	v_cndmask_b32_e32 v14, v6, v14, vcc_lo
	v_cmp_ge_i32_e64 s3, v16, v32
	s_delay_alu instid0(VALU_DEP_1) | instskip(NEXT) | instid1(SALU_CYCLE_1)
	s_or_b32 s35, s3, s35
	s_and_not1_b32 exec_lo, exec_lo, s35
	s_cbranch_execz .LBB58_2
.LBB58_9:                               ;   Parent Loop BB58_5 Depth=1
                                        ; =>  This Loop Header: Depth=2
                                        ;       Child Loop BB58_12 Depth 3
                                        ;       Child Loop BB58_32 Depth 3
	;; [unrolled: 1-line block ×3, first 2 shown]
	v_ashrrev_i32_e32 v17, 31, v16
	v_mov_b32_e32 v22, 0
	v_mov_b32_e32 v23, 0
	s_delay_alu instid0(VALU_DEP_3) | instskip(SKIP_1) | instid1(VALU_DEP_2)
	v_lshlrev_b64 v[1:2], 2, v[16:17]
	v_lshlrev_b64 v[17:18], 4, v[16:17]
	v_add_co_u32 v1, vcc_lo, s24, v1
	s_delay_alu instid0(VALU_DEP_3) | instskip(SKIP_3) | instid1(VALU_DEP_1)
	v_add_co_ci_u32_e32 v2, vcc_lo, s25, v2, vcc_lo
	global_load_b32 v35, v[1:2], off
	s_waitcnt vmcnt(0)
	v_subrev_nc_u32_e32 v19, s30, v35
	v_ashrrev_i32_e32 v20, 31, v19
	s_delay_alu instid0(VALU_DEP_1) | instskip(NEXT) | instid1(VALU_DEP_1)
	v_lshlrev_b64 v[1:2], 2, v[19:20]
	v_add_co_u32 v3, vcc_lo, s14, v1
	s_delay_alu instid0(VALU_DEP_2)
	v_add_co_ci_u32_e32 v4, vcc_lo, s15, v2, vcc_lo
	v_add_co_u32 v5, vcc_lo, s4, v1
	v_add_co_ci_u32_e32 v6, vcc_lo, s5, v2, vcc_lo
	global_load_b32 v3, v[3:4], off
	v_add_co_u32 v1, vcc_lo, s18, v1
	v_add_co_ci_u32_e32 v2, vcc_lo, s19, v2, vcc_lo
	v_add_co_u32 v7, vcc_lo, s26, v17
	v_add_co_ci_u32_e32 v8, vcc_lo, s27, v18, vcc_lo
	global_load_b32 v20, v[5:6], off
	global_load_b32 v21, v[1:2], off
	s_waitcnt vmcnt(2)
	v_subrev_nc_u32_e32 v3, s30, v3
	s_delay_alu instid0(VALU_DEP_1)
	v_ashrrev_i32_e32 v4, 31, v3
	s_waitcnt vmcnt(1)
	v_subrev_nc_u32_e32 v36, s30, v20
	s_waitcnt vmcnt(0)
	v_subrev_nc_u32_e32 v24, s30, v21
	v_lshlrev_b64 v[3:4], 4, v[3:4]
	s_delay_alu instid0(VALU_DEP_1) | instskip(NEXT) | instid1(VALU_DEP_2)
	v_add_co_u32 v1, vcc_lo, s10, v3
	v_add_co_ci_u32_e32 v2, vcc_lo, s11, v4, vcc_lo
	v_cmp_lt_i32_e32 vcc_lo, v21, v20
	v_mov_b32_e32 v20, v34
	global_load_b128 v[9:12], v[7:8], off
	global_load_b128 v[5:8], v[1:2], off
	v_dual_mov_b32 v27, v23 :: v_dual_mov_b32 v26, v22
	s_and_b32 s3, s2, vcc_lo
	s_delay_alu instid0(SALU_CYCLE_1)
	s_and_saveexec_b32 s36, s3
	s_cbranch_execz .LBB58_15
; %bb.10:                               ;   in Loop: Header=BB58_9 Depth=2
	v_mov_b32_e32 v22, 0
	v_dual_mov_b32 v23, 0 :: v_dual_mov_b32 v20, v34
	s_mov_b32 s37, 0
	s_delay_alu instid0(VALU_DEP_1)
	v_dual_mov_b32 v27, v23 :: v_dual_mov_b32 v26, v22
	s_branch .LBB58_12
.LBB58_11:                              ;   in Loop: Header=BB58_12 Depth=3
	s_or_b32 exec_lo, exec_lo, s3
	v_cmp_le_i32_e32 vcc_lo, v3, v4
	v_add_co_ci_u32_e32 v20, vcc_lo, 0, v20, vcc_lo
	v_cmp_ge_i32_e32 vcc_lo, v3, v4
	v_add_co_ci_u32_e32 v24, vcc_lo, 0, v24, vcc_lo
	s_delay_alu instid0(VALU_DEP_3) | instskip(NEXT) | instid1(VALU_DEP_2)
	v_cmp_ge_i32_e32 vcc_lo, v20, v33
	v_cmp_ge_i32_e64 s3, v24, v36
	s_delay_alu instid0(VALU_DEP_1) | instskip(NEXT) | instid1(SALU_CYCLE_1)
	s_or_b32 s3, vcc_lo, s3
	s_and_b32 s3, exec_lo, s3
	s_delay_alu instid0(SALU_CYCLE_1) | instskip(NEXT) | instid1(SALU_CYCLE_1)
	s_or_b32 s37, s3, s37
	s_and_not1_b32 exec_lo, exec_lo, s37
	s_cbranch_execz .LBB58_14
.LBB58_12:                              ;   Parent Loop BB58_5 Depth=1
                                        ;     Parent Loop BB58_9 Depth=2
                                        ; =>    This Inner Loop Header: Depth=3
	s_delay_alu instid0(VALU_DEP_2) | instskip(SKIP_2) | instid1(VALU_DEP_2)
	v_ashrrev_i32_e32 v21, 31, v20
	v_ashrrev_i32_e32 v25, 31, v24
	s_mov_b32 s3, exec_lo
	v_lshlrev_b64 v[3:4], 2, v[20:21]
	s_delay_alu instid0(VALU_DEP_2) | instskip(NEXT) | instid1(VALU_DEP_2)
	v_lshlrev_b64 v[1:2], 2, v[24:25]
	v_add_co_u32 v3, vcc_lo, s16, v3
	s_delay_alu instid0(VALU_DEP_3) | instskip(NEXT) | instid1(VALU_DEP_3)
	v_add_co_ci_u32_e32 v4, vcc_lo, s17, v4, vcc_lo
	v_add_co_u32 v37, vcc_lo, s6, v1
	s_delay_alu instid0(VALU_DEP_4)
	v_add_co_ci_u32_e32 v38, vcc_lo, s7, v2, vcc_lo
	global_load_b32 v3, v[3:4], off
	global_load_b32 v4, v[37:38], off
	s_waitcnt vmcnt(0)
	v_cmpx_eq_u32_e64 v3, v4
	s_cbranch_execz .LBB58_11
; %bb.13:                               ;   in Loop: Header=BB58_12 Depth=3
	v_add_co_u32 v1, vcc_lo, s8, v1
	v_add_co_ci_u32_e32 v2, vcc_lo, s9, v2, vcc_lo
	v_lshlrev_b64 v[37:38], 4, v[20:21]
	global_load_b32 v1, v[1:2], off
	v_add_co_u32 v37, vcc_lo, s10, v37
	v_add_co_ci_u32_e32 v38, vcc_lo, s11, v38, vcc_lo
	s_waitcnt vmcnt(0)
	v_ashrrev_i32_e32 v2, 31, v1
	s_delay_alu instid0(VALU_DEP_1) | instskip(NEXT) | instid1(VALU_DEP_1)
	v_lshlrev_b64 v[1:2], 4, v[1:2]
	v_add_co_u32 v1, vcc_lo, s10, v1
	s_delay_alu instid0(VALU_DEP_2)
	v_add_co_ci_u32_e32 v2, vcc_lo, s11, v2, vcc_lo
	s_clause 0x1
	global_load_b128 v[37:40], v[37:38], off
	global_load_b128 v[41:44], v[1:2], off
	s_waitcnt vmcnt(0)
	v_fma_f64 v[1:2], v[37:38], v[41:42], v[22:23]
	v_fma_f64 v[25:26], v[39:40], v[41:42], v[26:27]
	s_delay_alu instid0(VALU_DEP_2) | instskip(NEXT) | instid1(VALU_DEP_2)
	v_fma_f64 v[22:23], -v[39:40], v[43:44], v[1:2]
	v_fma_f64 v[26:27], v[37:38], v[43:44], v[25:26]
	s_branch .LBB58_11
.LBB58_14:                              ;   in Loop: Header=BB58_9 Depth=2
	s_or_b32 exec_lo, exec_lo, s37
.LBB58_15:                              ;   in Loop: Header=BB58_9 Depth=2
	s_delay_alu instid0(SALU_CYCLE_1)
	s_or_b32 exec_lo, exec_lo, s36
	s_waitcnt vmcnt(1)
	v_add_f64 v[1:2], v[9:10], -v[22:23]
	v_add_f64 v[3:4], v[11:12], -v[26:27]
	s_mov_b32 s3, exec_lo
	v_cmpx_gt_i32_e64 v15, v19
	s_cbranch_execz .LBB58_17
; %bb.16:                               ;   in Loop: Header=BB58_9 Depth=2
	s_waitcnt vmcnt(0)
	v_mul_f64 v[37:38], v[7:8], v[7:8]
	s_delay_alu instid0(VALU_DEP_1) | instskip(NEXT) | instid1(VALU_DEP_1)
	v_fma_f64 v[37:38], v[5:6], v[5:6], v[37:38]
	v_div_scale_f64 v[39:40], null, v[37:38], v[37:38], 1.0
	v_div_scale_f64 v[45:46], vcc_lo, 1.0, v[37:38], 1.0
	s_delay_alu instid0(VALU_DEP_2) | instskip(SKIP_2) | instid1(VALU_DEP_1)
	v_rcp_f64_e32 v[41:42], v[39:40]
	s_waitcnt_depctr 0xfff
	v_fma_f64 v[43:44], -v[39:40], v[41:42], 1.0
	v_fma_f64 v[41:42], v[41:42], v[43:44], v[41:42]
	s_delay_alu instid0(VALU_DEP_1) | instskip(NEXT) | instid1(VALU_DEP_1)
	v_fma_f64 v[43:44], -v[39:40], v[41:42], 1.0
	v_fma_f64 v[41:42], v[41:42], v[43:44], v[41:42]
	s_delay_alu instid0(VALU_DEP_1) | instskip(NEXT) | instid1(VALU_DEP_1)
	v_mul_f64 v[43:44], v[45:46], v[41:42]
	v_fma_f64 v[39:40], -v[39:40], v[43:44], v[45:46]
	s_delay_alu instid0(VALU_DEP_1) | instskip(SKIP_2) | instid1(VALU_DEP_3)
	v_div_fmas_f64 v[39:40], v[39:40], v[41:42], v[43:44]
	v_mul_f64 v[41:42], v[7:8], v[3:4]
	v_mul_f64 v[43:44], v[7:8], -v[1:2]
	v_div_fixup_f64 v[37:38], v[39:40], v[37:38], 1.0
	s_delay_alu instid0(VALU_DEP_3) | instskip(NEXT) | instid1(VALU_DEP_3)
	v_fma_f64 v[1:2], v[1:2], v[5:6], v[41:42]
	v_fma_f64 v[3:4], v[3:4], v[5:6], v[43:44]
	s_delay_alu instid0(VALU_DEP_2) | instskip(NEXT) | instid1(VALU_DEP_2)
	v_mul_f64 v[1:2], v[37:38], v[1:2]
	v_mul_f64 v[3:4], v[37:38], v[3:4]
.LBB58_17:                              ;   in Loop: Header=BB58_9 Depth=2
	s_or_b32 exec_lo, exec_lo, s3
	v_add_f64 v[22:23], v[22:23], -v[9:10]
	v_add_f64 v[9:10], v[26:27], -v[11:12]
	s_mov_b32 s36, exec_lo
	v_cmpx_lt_i32_e64 v24, v36
	s_cbranch_execnz .LBB58_30
; %bb.18:                               ;   in Loop: Header=BB58_9 Depth=2
	s_or_b32 exec_lo, exec_lo, s36
	s_delay_alu instid0(SALU_CYCLE_1)
	s_mov_b32 s36, exec_lo
	v_cmpx_lt_i32_e64 v20, v33
	s_cbranch_execnz .LBB58_42
.LBB58_19:                              ;   in Loop: Header=BB58_9 Depth=2
	s_or_b32 exec_lo, exec_lo, s36
	s_delay_alu instid0(SALU_CYCLE_1)
	s_mov_b32 s3, exec_lo
	v_cmpx_eq_u32_e64 v15, v19
	s_cbranch_execz .LBB58_21
.LBB58_20:                              ;   in Loop: Header=BB58_9 Depth=2
	s_waitcnt vmcnt(0)
	s_delay_alu instid0(VALU_DEP_3) | instskip(NEXT) | instid1(VALU_DEP_3)
	v_add_f64 v[22:23], v[5:6], v[22:23]
	v_add_f64 v[9:10], v[7:8], v[9:10]
.LBB58_21:                              ;   in Loop: Header=BB58_9 Depth=2
	s_or_b32 exec_lo, exec_lo, s3
	s_delay_alu instid0(VALU_DEP_2) | instskip(NEXT) | instid1(VALU_DEP_2)
	v_cmp_gt_f64_e32 vcc_lo, 0, v[22:23]
	v_cmp_gt_f64_e64 s3, 0, v[9:10]
	s_waitcnt vmcnt(0)
	v_xor_b32_e32 v5, 0x80000000, v23
	v_xor_b32_e32 v6, 0x80000000, v10
	s_delay_alu instid0(VALU_DEP_2) | instskip(NEXT) | instid1(VALU_DEP_2)
	v_dual_cndmask_b32 v8, v23, v5 :: v_dual_cndmask_b32 v7, v22, v22
	v_cndmask_b32_e64 v12, v10, v6, s3
	v_cndmask_b32_e64 v11, v9, v9, s3
	s_mov_b32 s3, exec_lo
                                        ; implicit-def: $vgpr5_vgpr6
	s_delay_alu instid0(VALU_DEP_1)
	v_cmpx_ngt_f64_e32 v[7:8], v[11:12]
	s_xor_b32 s3, exec_lo, s3
	s_cbranch_execz .LBB58_25
; %bb.22:                               ;   in Loop: Header=BB58_9 Depth=2
	v_mov_b32_e32 v5, 0
	v_mov_b32_e32 v6, 0
	s_mov_b32 s36, exec_lo
	v_cmpx_neq_f64_e32 0, v[9:10]
	s_cbranch_execz .LBB58_24
; %bb.23:                               ;   in Loop: Header=BB58_9 Depth=2
	v_div_scale_f64 v[5:6], null, v[11:12], v[11:12], v[7:8]
	v_div_scale_f64 v[21:22], vcc_lo, v[7:8], v[11:12], v[7:8]
	s_delay_alu instid0(VALU_DEP_2) | instskip(SKIP_2) | instid1(VALU_DEP_1)
	v_rcp_f64_e32 v[9:10], v[5:6]
	s_waitcnt_depctr 0xfff
	v_fma_f64 v[19:20], -v[5:6], v[9:10], 1.0
	v_fma_f64 v[9:10], v[9:10], v[19:20], v[9:10]
	s_delay_alu instid0(VALU_DEP_1) | instskip(NEXT) | instid1(VALU_DEP_1)
	v_fma_f64 v[19:20], -v[5:6], v[9:10], 1.0
	v_fma_f64 v[9:10], v[9:10], v[19:20], v[9:10]
	s_delay_alu instid0(VALU_DEP_1) | instskip(NEXT) | instid1(VALU_DEP_1)
	v_mul_f64 v[19:20], v[21:22], v[9:10]
	v_fma_f64 v[5:6], -v[5:6], v[19:20], v[21:22]
	s_delay_alu instid0(VALU_DEP_1) | instskip(NEXT) | instid1(VALU_DEP_1)
	v_div_fmas_f64 v[5:6], v[5:6], v[9:10], v[19:20]
	v_div_fixup_f64 v[5:6], v[5:6], v[11:12], v[7:8]
	s_delay_alu instid0(VALU_DEP_1) | instskip(NEXT) | instid1(VALU_DEP_1)
	v_fma_f64 v[5:6], v[5:6], v[5:6], 1.0
	v_cmp_gt_f64_e32 vcc_lo, 0x10000000, v[5:6]
	v_cndmask_b32_e64 v7, 0, 1, vcc_lo
	s_delay_alu instid0(VALU_DEP_1) | instskip(NEXT) | instid1(VALU_DEP_1)
	v_lshlrev_b32_e32 v7, 8, v7
	v_ldexp_f64 v[5:6], v[5:6], v7
	s_delay_alu instid0(VALU_DEP_1) | instskip(SKIP_3) | instid1(VALU_DEP_1)
	v_rsq_f64_e32 v[7:8], v[5:6]
	s_waitcnt_depctr 0xfff
	v_mul_f64 v[9:10], v[5:6], v[7:8]
	v_mul_f64 v[7:8], v[7:8], 0.5
	v_fma_f64 v[19:20], -v[7:8], v[9:10], 0.5
	s_delay_alu instid0(VALU_DEP_1) | instskip(SKIP_1) | instid1(VALU_DEP_2)
	v_fma_f64 v[9:10], v[9:10], v[19:20], v[9:10]
	v_fma_f64 v[7:8], v[7:8], v[19:20], v[7:8]
	v_fma_f64 v[19:20], -v[9:10], v[9:10], v[5:6]
	s_delay_alu instid0(VALU_DEP_1) | instskip(NEXT) | instid1(VALU_DEP_1)
	v_fma_f64 v[9:10], v[19:20], v[7:8], v[9:10]
	v_fma_f64 v[19:20], -v[9:10], v[9:10], v[5:6]
	s_delay_alu instid0(VALU_DEP_1) | instskip(SKIP_2) | instid1(VALU_DEP_2)
	v_fma_f64 v[7:8], v[19:20], v[7:8], v[9:10]
	v_cndmask_b32_e64 v9, 0, 0xffffff80, vcc_lo
	v_cmp_class_f64_e64 vcc_lo, v[5:6], 0x260
	v_ldexp_f64 v[7:8], v[7:8], v9
	s_delay_alu instid0(VALU_DEP_1) | instskip(NEXT) | instid1(VALU_DEP_1)
	v_dual_cndmask_b32 v6, v8, v6 :: v_dual_cndmask_b32 v5, v7, v5
	v_mul_f64 v[5:6], v[11:12], v[5:6]
.LBB58_24:                              ;   in Loop: Header=BB58_9 Depth=2
	s_or_b32 exec_lo, exec_lo, s36
                                        ; implicit-def: $vgpr7_vgpr8
                                        ; implicit-def: $vgpr11_vgpr12
.LBB58_25:                              ;   in Loop: Header=BB58_9 Depth=2
	s_and_not1_saveexec_b32 s3, s3
	s_cbranch_execz .LBB58_27
; %bb.26:                               ;   in Loop: Header=BB58_9 Depth=2
	v_div_scale_f64 v[5:6], null, v[7:8], v[7:8], v[11:12]
	v_div_scale_f64 v[21:22], vcc_lo, v[11:12], v[7:8], v[11:12]
	s_delay_alu instid0(VALU_DEP_2) | instskip(SKIP_2) | instid1(VALU_DEP_1)
	v_rcp_f64_e32 v[9:10], v[5:6]
	s_waitcnt_depctr 0xfff
	v_fma_f64 v[19:20], -v[5:6], v[9:10], 1.0
	v_fma_f64 v[9:10], v[9:10], v[19:20], v[9:10]
	s_delay_alu instid0(VALU_DEP_1) | instskip(NEXT) | instid1(VALU_DEP_1)
	v_fma_f64 v[19:20], -v[5:6], v[9:10], 1.0
	v_fma_f64 v[9:10], v[9:10], v[19:20], v[9:10]
	s_delay_alu instid0(VALU_DEP_1) | instskip(NEXT) | instid1(VALU_DEP_1)
	v_mul_f64 v[19:20], v[21:22], v[9:10]
	v_fma_f64 v[5:6], -v[5:6], v[19:20], v[21:22]
	s_delay_alu instid0(VALU_DEP_1) | instskip(NEXT) | instid1(VALU_DEP_1)
	v_div_fmas_f64 v[5:6], v[5:6], v[9:10], v[19:20]
	v_div_fixup_f64 v[5:6], v[5:6], v[7:8], v[11:12]
	s_delay_alu instid0(VALU_DEP_1) | instskip(NEXT) | instid1(VALU_DEP_1)
	v_fma_f64 v[5:6], v[5:6], v[5:6], 1.0
	v_cmp_gt_f64_e32 vcc_lo, 0x10000000, v[5:6]
	v_cndmask_b32_e64 v9, 0, 1, vcc_lo
	s_delay_alu instid0(VALU_DEP_1) | instskip(NEXT) | instid1(VALU_DEP_1)
	v_lshlrev_b32_e32 v9, 8, v9
	v_ldexp_f64 v[5:6], v[5:6], v9
	s_delay_alu instid0(VALU_DEP_1) | instskip(SKIP_3) | instid1(VALU_DEP_1)
	v_rsq_f64_e32 v[9:10], v[5:6]
	s_waitcnt_depctr 0xfff
	v_mul_f64 v[11:12], v[5:6], v[9:10]
	v_mul_f64 v[9:10], v[9:10], 0.5
	v_fma_f64 v[19:20], -v[9:10], v[11:12], 0.5
	s_delay_alu instid0(VALU_DEP_1) | instskip(SKIP_1) | instid1(VALU_DEP_2)
	v_fma_f64 v[11:12], v[11:12], v[19:20], v[11:12]
	v_fma_f64 v[9:10], v[9:10], v[19:20], v[9:10]
	v_fma_f64 v[19:20], -v[11:12], v[11:12], v[5:6]
	s_delay_alu instid0(VALU_DEP_1) | instskip(NEXT) | instid1(VALU_DEP_1)
	v_fma_f64 v[11:12], v[19:20], v[9:10], v[11:12]
	v_fma_f64 v[19:20], -v[11:12], v[11:12], v[5:6]
	s_delay_alu instid0(VALU_DEP_1) | instskip(SKIP_2) | instid1(VALU_DEP_2)
	v_fma_f64 v[9:10], v[19:20], v[9:10], v[11:12]
	v_cndmask_b32_e64 v11, 0, 0xffffff80, vcc_lo
	v_cmp_class_f64_e64 vcc_lo, v[5:6], 0x260
	v_ldexp_f64 v[9:10], v[9:10], v11
	s_delay_alu instid0(VALU_DEP_1) | instskip(NEXT) | instid1(VALU_DEP_1)
	v_dual_cndmask_b32 v6, v10, v6 :: v_dual_cndmask_b32 v5, v9, v5
	v_mul_f64 v[5:6], v[7:8], v[5:6]
.LBB58_27:                              ;   in Loop: Header=BB58_9 Depth=2
	s_or_b32 exec_lo, exec_lo, s3
	v_cmp_gt_f64_e32 vcc_lo, 0, v[1:2]
	v_cmp_gt_f64_e64 s3, 0, v[3:4]
	v_xor_b32_e32 v7, 0x80000000, v2
	v_xor_b32_e32 v9, 0x80000000, v4
                                        ; implicit-def: $vgpr11_vgpr12
	s_delay_alu instid0(VALU_DEP_2) | instskip(NEXT) | instid1(VALU_DEP_2)
	v_dual_cndmask_b32 v8, v2, v7 :: v_dual_cndmask_b32 v7, v1, v1
	v_cndmask_b32_e64 v10, v4, v9, s3
	v_cndmask_b32_e64 v9, v3, v3, s3
	s_mov_b32 s3, exec_lo
	s_delay_alu instid0(VALU_DEP_1)
	v_cmpx_ngt_f64_e32 v[7:8], v[9:10]
	s_xor_b32 s3, exec_lo, s3
	s_cbranch_execnz .LBB58_34
; %bb.28:                               ;   in Loop: Header=BB58_9 Depth=2
	s_and_not1_saveexec_b32 s3, s3
	s_cbranch_execnz .LBB58_37
.LBB58_29:                              ;   in Loop: Header=BB58_9 Depth=2
	s_or_b32 exec_lo, exec_lo, s3
	s_delay_alu instid0(VALU_DEP_1) | instskip(NEXT) | instid1(VALU_DEP_1)
	v_cmp_class_f64_e64 s36, v[11:12], 0x1f8
	s_and_saveexec_b32 s3, s36
	s_cbranch_execz .LBB58_8
	s_branch .LBB58_38
.LBB58_30:                              ;   in Loop: Header=BB58_9 Depth=2
	v_ashrrev_i32_e32 v25, 31, v24
	s_mov_b32 s38, 0
                                        ; implicit-def: $sgpr37
                                        ; implicit-def: $sgpr40
                                        ; implicit-def: $sgpr39
	s_delay_alu instid0(VALU_DEP_1) | instskip(NEXT) | instid1(VALU_DEP_1)
	v_lshlrev_b64 v[11:12], 2, v[24:25]
	v_add_co_u32 v11, vcc_lo, s6, v11
	s_delay_alu instid0(VALU_DEP_2)
	v_add_co_ci_u32_e32 v12, vcc_lo, s7, v12, vcc_lo
	s_set_inst_prefetch_distance 0x1
	s_branch .LBB58_32
	.p2align	6
.LBB58_31:                              ;   in Loop: Header=BB58_32 Depth=3
	s_or_b32 exec_lo, exec_lo, s41
	s_delay_alu instid0(SALU_CYCLE_1) | instskip(NEXT) | instid1(SALU_CYCLE_1)
	s_and_b32 s3, exec_lo, s40
	s_or_b32 s38, s3, s38
	s_and_not1_b32 s3, s37, exec_lo
	s_and_b32 s37, s39, exec_lo
	s_delay_alu instid0(SALU_CYCLE_1)
	s_or_b32 s37, s3, s37
	s_and_not1_b32 exec_lo, exec_lo, s38
	s_cbranch_execz .LBB58_39
.LBB58_32:                              ;   Parent Loop BB58_5 Depth=1
                                        ;     Parent Loop BB58_9 Depth=2
                                        ; =>    This Inner Loop Header: Depth=3
	global_load_b32 v21, v[11:12], off
	v_dual_mov_b32 v27, v25 :: v_dual_mov_b32 v26, v24
	s_or_b32 s39, s39, exec_lo
	s_or_b32 s40, s40, exec_lo
	s_mov_b32 s41, exec_lo
                                        ; implicit-def: $vgpr24_vgpr25
	s_waitcnt vmcnt(0)
	v_subrev_nc_u32_e32 v21, s30, v21
	s_delay_alu instid0(VALU_DEP_1)
	v_cmpx_ne_u32_e64 v21, v15
	s_cbranch_execz .LBB58_31
; %bb.33:                               ;   in Loop: Header=BB58_32 Depth=3
	v_add_co_u32 v24, vcc_lo, v26, 1
	v_add_co_ci_u32_e32 v25, vcc_lo, 0, v27, vcc_lo
	v_add_co_u32 v11, s3, v11, 4
	s_delay_alu instid0(VALU_DEP_3) | instskip(SKIP_4) | instid1(SALU_CYCLE_1)
	v_cmp_ge_i32_e32 vcc_lo, v24, v36
	v_add_co_ci_u32_e64 v12, s3, 0, v12, s3
	s_and_not1_b32 s3, s40, exec_lo
	s_and_not1_b32 s39, s39, exec_lo
	s_and_b32 s40, vcc_lo, exec_lo
	s_or_b32 s40, s3, s40
	s_branch .LBB58_31
.LBB58_34:                              ;   in Loop: Header=BB58_9 Depth=2
	v_mov_b32_e32 v11, 0
	v_mov_b32_e32 v12, 0
	s_mov_b32 s36, exec_lo
	v_cmpx_neq_f64_e32 0, v[3:4]
	s_cbranch_execz .LBB58_36
; %bb.35:                               ;   in Loop: Header=BB58_9 Depth=2
	v_div_scale_f64 v[11:12], null, v[9:10], v[9:10], v[7:8]
	v_div_scale_f64 v[23:24], vcc_lo, v[7:8], v[9:10], v[7:8]
	s_delay_alu instid0(VALU_DEP_2) | instskip(SKIP_2) | instid1(VALU_DEP_1)
	v_rcp_f64_e32 v[19:20], v[11:12]
	s_waitcnt_depctr 0xfff
	v_fma_f64 v[21:22], -v[11:12], v[19:20], 1.0
	v_fma_f64 v[19:20], v[19:20], v[21:22], v[19:20]
	s_delay_alu instid0(VALU_DEP_1) | instskip(NEXT) | instid1(VALU_DEP_1)
	v_fma_f64 v[21:22], -v[11:12], v[19:20], 1.0
	v_fma_f64 v[19:20], v[19:20], v[21:22], v[19:20]
	s_delay_alu instid0(VALU_DEP_1) | instskip(NEXT) | instid1(VALU_DEP_1)
	v_mul_f64 v[21:22], v[23:24], v[19:20]
	v_fma_f64 v[11:12], -v[11:12], v[21:22], v[23:24]
	s_delay_alu instid0(VALU_DEP_1) | instskip(NEXT) | instid1(VALU_DEP_1)
	v_div_fmas_f64 v[11:12], v[11:12], v[19:20], v[21:22]
	v_div_fixup_f64 v[7:8], v[11:12], v[9:10], v[7:8]
	s_delay_alu instid0(VALU_DEP_1) | instskip(NEXT) | instid1(VALU_DEP_1)
	v_fma_f64 v[7:8], v[7:8], v[7:8], 1.0
	v_cmp_gt_f64_e32 vcc_lo, 0x10000000, v[7:8]
	v_cndmask_b32_e64 v11, 0, 1, vcc_lo
	s_delay_alu instid0(VALU_DEP_1) | instskip(NEXT) | instid1(VALU_DEP_1)
	v_lshlrev_b32_e32 v11, 8, v11
	v_ldexp_f64 v[7:8], v[7:8], v11
	s_delay_alu instid0(VALU_DEP_1) | instskip(SKIP_3) | instid1(VALU_DEP_1)
	v_rsq_f64_e32 v[11:12], v[7:8]
	s_waitcnt_depctr 0xfff
	v_mul_f64 v[19:20], v[7:8], v[11:12]
	v_mul_f64 v[11:12], v[11:12], 0.5
	v_fma_f64 v[21:22], -v[11:12], v[19:20], 0.5
	s_delay_alu instid0(VALU_DEP_1) | instskip(SKIP_1) | instid1(VALU_DEP_2)
	v_fma_f64 v[19:20], v[19:20], v[21:22], v[19:20]
	v_fma_f64 v[11:12], v[11:12], v[21:22], v[11:12]
	v_fma_f64 v[21:22], -v[19:20], v[19:20], v[7:8]
	s_delay_alu instid0(VALU_DEP_1) | instskip(NEXT) | instid1(VALU_DEP_1)
	v_fma_f64 v[19:20], v[21:22], v[11:12], v[19:20]
	v_fma_f64 v[21:22], -v[19:20], v[19:20], v[7:8]
	s_delay_alu instid0(VALU_DEP_1) | instskip(SKIP_2) | instid1(VALU_DEP_2)
	v_fma_f64 v[11:12], v[21:22], v[11:12], v[19:20]
	v_cndmask_b32_e64 v19, 0, 0xffffff80, vcc_lo
	v_cmp_class_f64_e64 vcc_lo, v[7:8], 0x260
	v_ldexp_f64 v[11:12], v[11:12], v19
	s_delay_alu instid0(VALU_DEP_1) | instskip(NEXT) | instid1(VALU_DEP_1)
	v_dual_cndmask_b32 v8, v12, v8 :: v_dual_cndmask_b32 v7, v11, v7
	v_mul_f64 v[11:12], v[9:10], v[7:8]
.LBB58_36:                              ;   in Loop: Header=BB58_9 Depth=2
	s_or_b32 exec_lo, exec_lo, s36
                                        ; implicit-def: $vgpr7_vgpr8
                                        ; implicit-def: $vgpr9_vgpr10
	s_and_not1_saveexec_b32 s3, s3
	s_cbranch_execz .LBB58_29
.LBB58_37:                              ;   in Loop: Header=BB58_9 Depth=2
	v_div_scale_f64 v[11:12], null, v[7:8], v[7:8], v[9:10]
	v_div_scale_f64 v[23:24], vcc_lo, v[9:10], v[7:8], v[9:10]
	s_delay_alu instid0(VALU_DEP_2) | instskip(SKIP_2) | instid1(VALU_DEP_1)
	v_rcp_f64_e32 v[19:20], v[11:12]
	s_waitcnt_depctr 0xfff
	v_fma_f64 v[21:22], -v[11:12], v[19:20], 1.0
	v_fma_f64 v[19:20], v[19:20], v[21:22], v[19:20]
	s_delay_alu instid0(VALU_DEP_1) | instskip(NEXT) | instid1(VALU_DEP_1)
	v_fma_f64 v[21:22], -v[11:12], v[19:20], 1.0
	v_fma_f64 v[19:20], v[19:20], v[21:22], v[19:20]
	s_delay_alu instid0(VALU_DEP_1) | instskip(NEXT) | instid1(VALU_DEP_1)
	v_mul_f64 v[21:22], v[23:24], v[19:20]
	v_fma_f64 v[11:12], -v[11:12], v[21:22], v[23:24]
	s_delay_alu instid0(VALU_DEP_1) | instskip(NEXT) | instid1(VALU_DEP_1)
	v_div_fmas_f64 v[11:12], v[11:12], v[19:20], v[21:22]
	v_div_fixup_f64 v[9:10], v[11:12], v[7:8], v[9:10]
	s_delay_alu instid0(VALU_DEP_1) | instskip(NEXT) | instid1(VALU_DEP_1)
	v_fma_f64 v[9:10], v[9:10], v[9:10], 1.0
	v_cmp_gt_f64_e32 vcc_lo, 0x10000000, v[9:10]
	v_cndmask_b32_e64 v11, 0, 1, vcc_lo
	s_delay_alu instid0(VALU_DEP_1) | instskip(NEXT) | instid1(VALU_DEP_1)
	v_lshlrev_b32_e32 v11, 8, v11
	v_ldexp_f64 v[9:10], v[9:10], v11
	s_delay_alu instid0(VALU_DEP_1) | instskip(SKIP_3) | instid1(VALU_DEP_1)
	v_rsq_f64_e32 v[11:12], v[9:10]
	s_waitcnt_depctr 0xfff
	v_mul_f64 v[19:20], v[9:10], v[11:12]
	v_mul_f64 v[11:12], v[11:12], 0.5
	v_fma_f64 v[21:22], -v[11:12], v[19:20], 0.5
	s_delay_alu instid0(VALU_DEP_1) | instskip(SKIP_1) | instid1(VALU_DEP_2)
	v_fma_f64 v[19:20], v[19:20], v[21:22], v[19:20]
	v_fma_f64 v[11:12], v[11:12], v[21:22], v[11:12]
	v_fma_f64 v[21:22], -v[19:20], v[19:20], v[9:10]
	s_delay_alu instid0(VALU_DEP_1) | instskip(NEXT) | instid1(VALU_DEP_1)
	v_fma_f64 v[19:20], v[21:22], v[11:12], v[19:20]
	v_fma_f64 v[21:22], -v[19:20], v[19:20], v[9:10]
	s_delay_alu instid0(VALU_DEP_1) | instskip(SKIP_2) | instid1(VALU_DEP_2)
	v_fma_f64 v[11:12], v[21:22], v[11:12], v[19:20]
	v_cndmask_b32_e64 v19, 0, 0xffffff80, vcc_lo
	v_cmp_class_f64_e64 vcc_lo, v[9:10], 0x260
	v_ldexp_f64 v[11:12], v[11:12], v19
	s_delay_alu instid0(VALU_DEP_1) | instskip(NEXT) | instid1(VALU_DEP_1)
	v_dual_cndmask_b32 v10, v12, v10 :: v_dual_cndmask_b32 v9, v11, v9
	v_mul_f64 v[11:12], v[7:8], v[9:10]
	s_or_b32 exec_lo, exec_lo, s3
	s_delay_alu instid0(VALU_DEP_1) | instskip(NEXT) | instid1(VALU_DEP_1)
	v_cmp_class_f64_e64 s36, v[11:12], 0x1f8
	s_and_saveexec_b32 s3, s36
	s_cbranch_execz .LBB58_8
.LBB58_38:                              ;   in Loop: Header=BB58_9 Depth=2
	v_add_co_u32 v7, vcc_lo, s10, v17
	v_add_co_ci_u32_e32 v8, vcc_lo, s11, v18, vcc_lo
	global_store_b128 v[7:8], v[1:4], off
	s_branch .LBB58_8
.LBB58_39:                              ;   in Loop: Header=BB58_9 Depth=2
	s_set_inst_prefetch_distance 0x2
	s_or_b32 exec_lo, exec_lo, s38
	s_and_saveexec_b32 s3, s37
	s_delay_alu instid0(SALU_CYCLE_1)
	s_xor_b32 s3, exec_lo, s3
	s_cbranch_execz .LBB58_41
; %bb.40:                               ;   in Loop: Header=BB58_9 Depth=2
	v_lshlrev_b64 v[11:12], 2, v[26:27]
	s_delay_alu instid0(VALU_DEP_1) | instskip(NEXT) | instid1(VALU_DEP_2)
	v_add_co_u32 v11, vcc_lo, s8, v11
	v_add_co_ci_u32_e32 v12, vcc_lo, s9, v12, vcc_lo
	global_load_b32 v11, v[11:12], off
	s_waitcnt vmcnt(0)
	v_ashrrev_i32_e32 v12, 31, v11
	s_delay_alu instid0(VALU_DEP_1) | instskip(NEXT) | instid1(VALU_DEP_1)
	v_lshlrev_b64 v[11:12], 4, v[11:12]
	v_add_co_u32 v11, vcc_lo, s10, v11
	s_delay_alu instid0(VALU_DEP_2)
	v_add_co_ci_u32_e32 v12, vcc_lo, s11, v12, vcc_lo
	global_load_b128 v[24:27], v[11:12], off
	s_waitcnt vmcnt(0)
	v_add_f64 v[22:23], v[22:23], v[24:25]
	v_add_f64 v[9:10], v[9:10], v[26:27]
.LBB58_41:                              ;   in Loop: Header=BB58_9 Depth=2
	s_or_b32 exec_lo, exec_lo, s3
	s_delay_alu instid0(SALU_CYCLE_1) | instskip(NEXT) | instid1(SALU_CYCLE_1)
	s_or_b32 exec_lo, exec_lo, s36
	s_mov_b32 s36, exec_lo
	v_cmpx_lt_i32_e64 v20, v33
	s_cbranch_execz .LBB58_19
.LBB58_42:                              ;   in Loop: Header=BB58_9 Depth=2
	v_ashrrev_i32_e32 v21, 31, v20
	s_mov_b32 s38, 0
                                        ; implicit-def: $sgpr37
                                        ; implicit-def: $sgpr40
                                        ; implicit-def: $sgpr39
	s_delay_alu instid0(VALU_DEP_1) | instskip(NEXT) | instid1(VALU_DEP_1)
	v_lshlrev_b64 v[11:12], 2, v[20:21]
	v_add_co_u32 v11, vcc_lo, s16, v11
	s_delay_alu instid0(VALU_DEP_2)
	v_add_co_ci_u32_e32 v12, vcc_lo, s17, v12, vcc_lo
	s_set_inst_prefetch_distance 0x1
	s_branch .LBB58_44
	.p2align	6
.LBB58_43:                              ;   in Loop: Header=BB58_44 Depth=3
	s_or_b32 exec_lo, exec_lo, s41
	s_delay_alu instid0(SALU_CYCLE_1) | instskip(NEXT) | instid1(SALU_CYCLE_1)
	s_and_b32 s3, exec_lo, s40
	s_or_b32 s38, s3, s38
	s_and_not1_b32 s3, s37, exec_lo
	s_and_b32 s37, s39, exec_lo
	s_delay_alu instid0(SALU_CYCLE_1)
	s_or_b32 s37, s3, s37
	s_and_not1_b32 exec_lo, exec_lo, s38
	s_cbranch_execz .LBB58_46
.LBB58_44:                              ;   Parent Loop BB58_5 Depth=1
                                        ;     Parent Loop BB58_9 Depth=2
                                        ; =>    This Inner Loop Header: Depth=3
	global_load_b32 v26, v[11:12], off
	v_dual_mov_b32 v25, v21 :: v_dual_mov_b32 v24, v20
	s_or_b32 s39, s39, exec_lo
	s_or_b32 s40, s40, exec_lo
	s_mov_b32 s41, exec_lo
                                        ; implicit-def: $vgpr20_vgpr21
	s_waitcnt vmcnt(0)
	v_cmpx_ne_u32_e64 v26, v35
	s_cbranch_execz .LBB58_43
; %bb.45:                               ;   in Loop: Header=BB58_44 Depth=3
	v_add_co_u32 v20, vcc_lo, v24, 1
	v_add_co_ci_u32_e32 v21, vcc_lo, 0, v25, vcc_lo
	v_add_co_u32 v11, s3, v11, 4
	s_delay_alu instid0(VALU_DEP_3) | instskip(SKIP_4) | instid1(SALU_CYCLE_1)
	v_cmp_ge_i32_e32 vcc_lo, v20, v33
	v_add_co_ci_u32_e64 v12, s3, 0, v12, s3
	s_and_not1_b32 s3, s40, exec_lo
	s_and_not1_b32 s39, s39, exec_lo
	s_and_b32 s40, vcc_lo, exec_lo
	s_or_b32 s40, s3, s40
	s_branch .LBB58_43
.LBB58_46:                              ;   in Loop: Header=BB58_9 Depth=2
	s_set_inst_prefetch_distance 0x2
	s_or_b32 exec_lo, exec_lo, s38
	s_and_saveexec_b32 s3, s37
	s_delay_alu instid0(SALU_CYCLE_1)
	s_xor_b32 s3, exec_lo, s3
	s_cbranch_execz .LBB58_48
; %bb.47:                               ;   in Loop: Header=BB58_9 Depth=2
	v_lshlrev_b64 v[11:12], 4, v[24:25]
	s_delay_alu instid0(VALU_DEP_1) | instskip(NEXT) | instid1(VALU_DEP_2)
	v_add_co_u32 v11, vcc_lo, s10, v11
	v_add_co_ci_u32_e32 v12, vcc_lo, s11, v12, vcc_lo
	global_load_b128 v[24:27], v[11:12], off
	s_waitcnt vmcnt(0)
	v_fma_f64 v[11:12], v[24:25], v[5:6], v[22:23]
	v_fma_f64 v[9:10], v[26:27], v[5:6], v[9:10]
	s_delay_alu instid0(VALU_DEP_2) | instskip(NEXT) | instid1(VALU_DEP_2)
	v_fma_f64 v[22:23], -v[26:27], v[7:8], v[11:12]
	v_fma_f64 v[9:10], v[24:25], v[7:8], v[9:10]
.LBB58_48:                              ;   in Loop: Header=BB58_9 Depth=2
	s_or_b32 exec_lo, exec_lo, s3
	s_delay_alu instid0(SALU_CYCLE_1) | instskip(NEXT) | instid1(SALU_CYCLE_1)
	s_or_b32 exec_lo, exec_lo, s36
	s_mov_b32 s3, exec_lo
	v_cmpx_eq_u32_e64 v15, v19
	s_cbranch_execnz .LBB58_20
	s_branch .LBB58_21
.LBB58_49:
	s_or_b32 exec_lo, exec_lo, s29
	v_mbcnt_lo_u32_b32 v3, -1, 0
	s_delay_alu instid0(VALU_DEP_1) | instskip(SKIP_1) | instid1(VALU_DEP_2)
	v_xor_b32_e32 v1, 2, v3
	v_xor_b32_e32 v4, 1, v3
	v_cmp_gt_i32_e32 vcc_lo, 32, v1
	s_delay_alu instid0(VALU_DEP_2) | instskip(SKIP_1) | instid1(VALU_DEP_2)
	v_cmp_gt_i32_e64 s2, 32, v4
	v_cndmask_b32_e32 v1, v3, v1, vcc_lo
	v_cndmask_b32_e64 v3, v3, v4, s2
	s_mov_b32 s2, exec_lo
	s_delay_alu instid0(VALU_DEP_1) | instskip(NEXT) | instid1(VALU_DEP_3)
	v_lshlrev_b32_e32 v4, 2, v3
	v_lshlrev_b32_e32 v2, 2, v1
	ds_bpermute_b32 v1, v2, v13
	ds_bpermute_b32 v2, v2, v14
	s_waitcnt lgkmcnt(0)
	v_cmp_lt_f64_e32 vcc_lo, v[13:14], v[1:2]
	v_dual_cndmask_b32 v2, v14, v2 :: v_dual_cndmask_b32 v1, v13, v1
	ds_bpermute_b32 v3, v4, v1
	ds_bpermute_b32 v4, v4, v2
	v_cmpx_eq_u32_e32 3, v29
	s_cbranch_execz .LBB58_51
; %bb.50:
	s_waitcnt lgkmcnt(0)
	v_cmp_lt_f64_e32 vcc_lo, v[1:2], v[3:4]
	v_lshlrev_b32_e32 v5, 3, v28
	v_dual_cndmask_b32 v2, v2, v4 :: v_dual_cndmask_b32 v1, v1, v3
	ds_store_b64 v5, v[1:2]
.LBB58_51:
	s_or_b32 exec_lo, exec_lo, s2
	v_lshlrev_b32_e32 v1, 3, v0
	s_mov_b32 s2, exec_lo
	s_waitcnt lgkmcnt(0)
	s_waitcnt_vscnt null, 0x0
	s_barrier
	buffer_gl0_inv
	v_cmpx_gt_u32_e32 0x80, v0
	s_cbranch_execz .LBB58_53
; %bb.52:
	ds_load_2addr_stride64_b64 v[2:5], v1 offset1:2
	s_waitcnt lgkmcnt(0)
	v_cmp_lt_f64_e32 vcc_lo, v[2:3], v[4:5]
	v_dual_cndmask_b32 v3, v3, v5 :: v_dual_cndmask_b32 v2, v2, v4
	ds_store_b64 v1, v[2:3]
.LBB58_53:
	s_or_b32 exec_lo, exec_lo, s2
	s_delay_alu instid0(SALU_CYCLE_1)
	s_mov_b32 s2, exec_lo
	s_waitcnt lgkmcnt(0)
	s_barrier
	buffer_gl0_inv
	v_cmpx_gt_u32_e32 64, v0
	s_cbranch_execz .LBB58_55
; %bb.54:
	ds_load_2addr_stride64_b64 v[2:5], v1 offset1:1
	s_waitcnt lgkmcnt(0)
	v_cmp_lt_f64_e32 vcc_lo, v[2:3], v[4:5]
	v_dual_cndmask_b32 v3, v3, v5 :: v_dual_cndmask_b32 v2, v2, v4
	ds_store_b64 v1, v[2:3]
.LBB58_55:
	s_or_b32 exec_lo, exec_lo, s2
	s_delay_alu instid0(SALU_CYCLE_1)
	s_mov_b32 s2, exec_lo
	s_waitcnt lgkmcnt(0)
	s_barrier
	buffer_gl0_inv
	v_cmpx_gt_u32_e32 32, v0
	s_cbranch_execz .LBB58_57
; %bb.56:
	ds_load_2addr_b64 v[2:5], v1 offset1:32
	s_waitcnt lgkmcnt(0)
	v_cmp_lt_f64_e32 vcc_lo, v[2:3], v[4:5]
	v_dual_cndmask_b32 v3, v3, v5 :: v_dual_cndmask_b32 v2, v2, v4
	ds_store_b64 v1, v[2:3]
.LBB58_57:
	s_or_b32 exec_lo, exec_lo, s2
	s_delay_alu instid0(SALU_CYCLE_1)
	s_mov_b32 s2, exec_lo
	s_waitcnt lgkmcnt(0)
	s_barrier
	buffer_gl0_inv
	v_cmpx_gt_u32_e32 16, v0
	s_cbranch_execz .LBB58_59
; %bb.58:
	ds_load_2addr_b64 v[2:5], v1 offset1:16
	s_waitcnt lgkmcnt(0)
	v_cmp_lt_f64_e32 vcc_lo, v[2:3], v[4:5]
	v_dual_cndmask_b32 v3, v3, v5 :: v_dual_cndmask_b32 v2, v2, v4
	ds_store_b64 v1, v[2:3]
.LBB58_59:
	;; [unrolled: 15-line block ×5, first 2 shown]
	s_or_b32 exec_lo, exec_lo, s2
	v_cmp_eq_u32_e32 vcc_lo, 0, v0
	s_waitcnt lgkmcnt(0)
	s_barrier
	buffer_gl0_inv
	s_and_saveexec_b32 s3, vcc_lo
	s_cbranch_execz .LBB58_67
; %bb.66:
	v_mov_b32_e32 v4, 0
	ds_load_b128 v[0:3], v4
	s_waitcnt lgkmcnt(0)
	v_cmp_lt_f64_e64 s2, v[0:1], v[2:3]
	s_delay_alu instid0(VALU_DEP_1)
	v_cndmask_b32_e64 v1, v1, v3, s2
	v_cndmask_b32_e64 v0, v0, v2, s2
	ds_store_b64 v4, v[0:1]
.LBB58_67:
	s_or_b32 exec_lo, exec_lo, s3
	s_waitcnt lgkmcnt(0)
	s_barrier
	buffer_gl0_inv
	s_and_saveexec_b32 s2, vcc_lo
	s_cbranch_execz .LBB58_72
; %bb.68:
	s_load_b128 s[4:7], s[0:1], 0x70
	v_mov_b32_e32 v4, 0
	s_brev_b32 s3, 1
	s_mov_b32 s2, 0
	ds_load_b64 v[0:1], v4
	s_waitcnt lgkmcnt(0)
	s_load_b64 s[0:1], s[6:7], 0x0
	global_load_b64 v[2:3], v4, s[4:5] glc
	s_waitcnt lgkmcnt(0)
	v_div_scale_f64 v[5:6], null, s[0:1], s[0:1], v[0:1]
	s_delay_alu instid0(VALU_DEP_1) | instskip(SKIP_2) | instid1(VALU_DEP_1)
	v_rcp_f64_e32 v[7:8], v[5:6]
	s_waitcnt_depctr 0xfff
	v_fma_f64 v[9:10], -v[5:6], v[7:8], 1.0
	v_fma_f64 v[7:8], v[7:8], v[9:10], v[7:8]
	s_delay_alu instid0(VALU_DEP_1) | instskip(NEXT) | instid1(VALU_DEP_1)
	v_fma_f64 v[9:10], -v[5:6], v[7:8], 1.0
	v_fma_f64 v[7:8], v[7:8], v[9:10], v[7:8]
	v_div_scale_f64 v[9:10], vcc_lo, v[0:1], s[0:1], v[0:1]
	s_delay_alu instid0(VALU_DEP_1) | instskip(NEXT) | instid1(VALU_DEP_1)
	v_mul_f64 v[11:12], v[9:10], v[7:8]
	v_fma_f64 v[5:6], -v[5:6], v[11:12], v[9:10]
	s_waitcnt vmcnt(0)
	v_cmp_eq_u64_e64 s6, s[2:3], v[2:3]
                                        ; implicit-def: $sgpr3
	s_delay_alu instid0(VALU_DEP_2) | instskip(NEXT) | instid1(VALU_DEP_1)
	v_div_fmas_f64 v[5:6], v[5:6], v[7:8], v[11:12]
	v_div_fixup_f64 v[0:1], v[5:6], s[0:1], v[0:1]
                                        ; implicit-def: $sgpr1
	s_delay_alu instid0(VALU_DEP_1)
	v_cmp_eq_f64_e32 vcc_lo, 0, v[0:1]
	s_set_inst_prefetch_distance 0x1
	s_branch .LBB58_70
	.p2align	6
.LBB58_69:                              ;   in Loop: Header=BB58_70 Depth=1
	s_or_b32 exec_lo, exec_lo, s7
	s_delay_alu instid0(SALU_CYCLE_1) | instskip(NEXT) | instid1(SALU_CYCLE_1)
	s_and_b32 s0, exec_lo, s1
	s_or_b32 s2, s0, s2
	s_and_not1_b32 s0, s6, exec_lo
	s_and_b32 s6, s3, exec_lo
	s_delay_alu instid0(SALU_CYCLE_1)
	s_or_b32 s6, s0, s6
	s_and_not1_b32 exec_lo, exec_lo, s2
	s_cbranch_execz .LBB58_72
.LBB58_70:                              ; =>This Inner Loop Header: Depth=1
	v_cmp_lt_f64_e64 s0, v[2:3], v[0:1]
	s_and_b32 s7, vcc_lo, s6
	s_and_not1_b32 s3, s3, exec_lo
	s_or_b32 s1, s1, exec_lo
	s_delay_alu instid0(VALU_DEP_1) | instskip(NEXT) | instid1(SALU_CYCLE_1)
	s_or_b32 s0, s0, s7
	s_and_saveexec_b32 s7, s0
	s_cbranch_execz .LBB58_69
; %bb.71:                               ;   in Loop: Header=BB58_70 Depth=1
	global_atomic_cmpswap_b64 v[5:6], v4, v[0:3], s[4:5] glc
	s_and_not1_b32 s3, s3, exec_lo
	s_and_not1_b32 s1, s1, exec_lo
	s_waitcnt vmcnt(0)
	v_cmp_eq_u64_e64 s0, v[5:6], v[2:3]
	s_delay_alu instid0(VALU_DEP_1) | instskip(SKIP_2) | instid1(SALU_CYCLE_1)
	v_cndmask_b32_e64 v3, v6, v3, s0
	v_cndmask_b32_e64 v2, v5, v2, s0
	s_and_b32 s0, s0, exec_lo
	s_or_b32 s1, s1, s0
	s_delay_alu instid0(VALU_DEP_1) | instskip(SKIP_1) | instid1(VALU_DEP_2)
	v_cmp_class_f64_e64 s6, v[2:3], 32
	v_dual_mov_b32 v2, v5 :: v_dual_mov_b32 v3, v6
	s_and_b32 s6, s6, exec_lo
	s_delay_alu instid0(SALU_CYCLE_1)
	s_or_b32 s3, s3, s6
                                        ; implicit-def: $sgpr6
	s_branch .LBB58_69
.LBB58_72:
	s_set_inst_prefetch_distance 0x2
	s_endpgm
	.section	.rodata,"a",@progbits
	.p2align	6, 0x0
	.amdhsa_kernel _ZN9rocsparseL16kernel_calculateILi1024ELi4ELb1E21rocsparse_complex_numIdEiiEEvT4_T3_PKS4_S6_PKS3_PKT2_21rocsparse_index_base_S6_S6_S8_S6_S6_S8_S6_PS9_PNS_15floating_traitsIS9_E6data_tEPKSG_
		.amdhsa_group_segment_fixed_size 2048
		.amdhsa_private_segment_fixed_size 0
		.amdhsa_kernarg_size 128
		.amdhsa_user_sgpr_count 15
		.amdhsa_user_sgpr_dispatch_ptr 0
		.amdhsa_user_sgpr_queue_ptr 0
		.amdhsa_user_sgpr_kernarg_segment_ptr 1
		.amdhsa_user_sgpr_dispatch_id 0
		.amdhsa_user_sgpr_private_segment_size 0
		.amdhsa_wavefront_size32 1
		.amdhsa_uses_dynamic_stack 0
		.amdhsa_enable_private_segment 0
		.amdhsa_system_sgpr_workgroup_id_x 1
		.amdhsa_system_sgpr_workgroup_id_y 0
		.amdhsa_system_sgpr_workgroup_id_z 0
		.amdhsa_system_sgpr_workgroup_info 0
		.amdhsa_system_vgpr_workitem_id 0
		.amdhsa_next_free_vgpr 47
		.amdhsa_next_free_sgpr 42
		.amdhsa_reserve_vcc 1
		.amdhsa_float_round_mode_32 0
		.amdhsa_float_round_mode_16_64 0
		.amdhsa_float_denorm_mode_32 3
		.amdhsa_float_denorm_mode_16_64 3
		.amdhsa_dx10_clamp 1
		.amdhsa_ieee_mode 1
		.amdhsa_fp16_overflow 0
		.amdhsa_workgroup_processor_mode 1
		.amdhsa_memory_ordered 1
		.amdhsa_forward_progress 0
		.amdhsa_shared_vgpr_count 0
		.amdhsa_exception_fp_ieee_invalid_op 0
		.amdhsa_exception_fp_denorm_src 0
		.amdhsa_exception_fp_ieee_div_zero 0
		.amdhsa_exception_fp_ieee_overflow 0
		.amdhsa_exception_fp_ieee_underflow 0
		.amdhsa_exception_fp_ieee_inexact 0
		.amdhsa_exception_int_div_zero 0
	.end_amdhsa_kernel
	.section	.text._ZN9rocsparseL16kernel_calculateILi1024ELi4ELb1E21rocsparse_complex_numIdEiiEEvT4_T3_PKS4_S6_PKS3_PKT2_21rocsparse_index_base_S6_S6_S8_S6_S6_S8_S6_PS9_PNS_15floating_traitsIS9_E6data_tEPKSG_,"axG",@progbits,_ZN9rocsparseL16kernel_calculateILi1024ELi4ELb1E21rocsparse_complex_numIdEiiEEvT4_T3_PKS4_S6_PKS3_PKT2_21rocsparse_index_base_S6_S6_S8_S6_S6_S8_S6_PS9_PNS_15floating_traitsIS9_E6data_tEPKSG_,comdat
.Lfunc_end58:
	.size	_ZN9rocsparseL16kernel_calculateILi1024ELi4ELb1E21rocsparse_complex_numIdEiiEEvT4_T3_PKS4_S6_PKS3_PKT2_21rocsparse_index_base_S6_S6_S8_S6_S6_S8_S6_PS9_PNS_15floating_traitsIS9_E6data_tEPKSG_, .Lfunc_end58-_ZN9rocsparseL16kernel_calculateILi1024ELi4ELb1E21rocsparse_complex_numIdEiiEEvT4_T3_PKS4_S6_PKS3_PKT2_21rocsparse_index_base_S6_S6_S8_S6_S6_S8_S6_PS9_PNS_15floating_traitsIS9_E6data_tEPKSG_
                                        ; -- End function
	.section	.AMDGPU.csdata,"",@progbits
; Kernel info:
; codeLenInByte = 4612
; NumSgprs: 44
; NumVgprs: 47
; ScratchSize: 0
; MemoryBound: 1
; FloatMode: 240
; IeeeMode: 1
; LDSByteSize: 2048 bytes/workgroup (compile time only)
; SGPRBlocks: 5
; VGPRBlocks: 5
; NumSGPRsForWavesPerEU: 44
; NumVGPRsForWavesPerEU: 47
; Occupancy: 16
; WaveLimiterHint : 1
; COMPUTE_PGM_RSRC2:SCRATCH_EN: 0
; COMPUTE_PGM_RSRC2:USER_SGPR: 15
; COMPUTE_PGM_RSRC2:TRAP_HANDLER: 0
; COMPUTE_PGM_RSRC2:TGID_X_EN: 1
; COMPUTE_PGM_RSRC2:TGID_Y_EN: 0
; COMPUTE_PGM_RSRC2:TGID_Z_EN: 0
; COMPUTE_PGM_RSRC2:TIDIG_COMP_CNT: 0
	.section	.text._ZN9rocsparseL16kernel_calculateILi1024ELi8ELb1E21rocsparse_complex_numIdEiiEEvT4_T3_PKS4_S6_PKS3_PKT2_21rocsparse_index_base_S6_S6_S8_S6_S6_S8_S6_PS9_PNS_15floating_traitsIS9_E6data_tEPKSG_,"axG",@progbits,_ZN9rocsparseL16kernel_calculateILi1024ELi8ELb1E21rocsparse_complex_numIdEiiEEvT4_T3_PKS4_S6_PKS3_PKT2_21rocsparse_index_base_S6_S6_S8_S6_S6_S8_S6_PS9_PNS_15floating_traitsIS9_E6data_tEPKSG_,comdat
	.globl	_ZN9rocsparseL16kernel_calculateILi1024ELi8ELb1E21rocsparse_complex_numIdEiiEEvT4_T3_PKS4_S6_PKS3_PKT2_21rocsparse_index_base_S6_S6_S8_S6_S6_S8_S6_PS9_PNS_15floating_traitsIS9_E6data_tEPKSG_ ; -- Begin function _ZN9rocsparseL16kernel_calculateILi1024ELi8ELb1E21rocsparse_complex_numIdEiiEEvT4_T3_PKS4_S6_PKS3_PKT2_21rocsparse_index_base_S6_S6_S8_S6_S6_S8_S6_PS9_PNS_15floating_traitsIS9_E6data_tEPKSG_
	.p2align	8
	.type	_ZN9rocsparseL16kernel_calculateILi1024ELi8ELb1E21rocsparse_complex_numIdEiiEEvT4_T3_PKS4_S6_PKS3_PKT2_21rocsparse_index_base_S6_S6_S8_S6_S6_S8_S6_PS9_PNS_15floating_traitsIS9_E6data_tEPKSG_,@function
_ZN9rocsparseL16kernel_calculateILi1024ELi8ELb1E21rocsparse_complex_numIdEiiEEvT4_T3_PKS4_S6_PKS3_PKT2_21rocsparse_index_base_S6_S6_S8_S6_S6_S8_S6_PS9_PNS_15floating_traitsIS9_E6data_tEPKSG_: ; @_ZN9rocsparseL16kernel_calculateILi1024ELi8ELb1E21rocsparse_complex_numIdEiiEEvT4_T3_PKS4_S6_PKS3_PKT2_21rocsparse_index_base_S6_S6_S8_S6_S6_S8_S6_PS9_PNS_15floating_traitsIS9_E6data_tEPKSG_
; %bb.0:
	s_load_b32 s28, s[0:1], 0x0
	v_lshrrev_b32_e32 v28, 3, v0
	v_mov_b32_e32 v13, 0
	v_dual_mov_b32 v14, 0 :: v_dual_and_b32 v29, 7, v0
	s_mov_b32 s29, exec_lo
	s_delay_alu instid0(VALU_DEP_3) | instskip(SKIP_1) | instid1(VALU_DEP_1)
	v_lshl_or_b32 v30, s15, 10, v28
	s_waitcnt lgkmcnt(0)
	v_cmpx_gt_i32_e64 s28, v30
	s_cbranch_execz .LBB59_49
; %bb.1:
	s_clause 0x3
	s_load_b32 s30, s[0:1], 0x28
	s_load_b256 s[4:11], s[0:1], 0x50
	s_load_b256 s[12:19], s[0:1], 0x30
	s_load_b256 s[20:27], s[0:1], 0x8
	v_mov_b32_e32 v13, 0
	v_mov_b32_e32 v14, 0
	s_mov_b32 s31, 0
	s_waitcnt lgkmcnt(0)
	v_subrev_nc_u32_e32 v31, s30, v29
	s_branch .LBB59_5
.LBB59_2:                               ;   in Loop: Header=BB59_5 Depth=1
	s_or_b32 exec_lo, exec_lo, s35
.LBB59_3:                               ;   in Loop: Header=BB59_5 Depth=1
	s_delay_alu instid0(SALU_CYCLE_1)
	s_or_b32 exec_lo, exec_lo, s34
.LBB59_4:                               ;   in Loop: Header=BB59_5 Depth=1
	s_delay_alu instid0(SALU_CYCLE_1) | instskip(SKIP_1) | instid1(SALU_CYCLE_1)
	s_or_b32 exec_lo, exec_lo, s33
	s_add_i32 s31, s31, 1
	s_cmp_lg_u32 s31, 8
	s_cbranch_scc0 .LBB59_49
.LBB59_5:                               ; =>This Loop Header: Depth=1
                                        ;     Child Loop BB59_9 Depth 2
                                        ;       Child Loop BB59_12 Depth 3
                                        ;       Child Loop BB59_32 Depth 3
	;; [unrolled: 1-line block ×3, first 2 shown]
	v_lshl_add_u32 v15, s31, 7, v30
	s_mov_b32 s33, exec_lo
	s_delay_alu instid0(VALU_DEP_1)
	v_cmpx_gt_i32_e64 s28, v15
	s_cbranch_execz .LBB59_4
; %bb.6:                                ;   in Loop: Header=BB59_5 Depth=1
	v_ashrrev_i32_e32 v16, 31, v15
	s_mov_b32 s34, exec_lo
	s_delay_alu instid0(VALU_DEP_1) | instskip(NEXT) | instid1(VALU_DEP_1)
	v_lshlrev_b64 v[1:2], 2, v[15:16]
	v_add_co_u32 v3, vcc_lo, s22, v1
	s_delay_alu instid0(VALU_DEP_2)
	v_add_co_ci_u32_e32 v4, vcc_lo, s23, v2, vcc_lo
	v_add_co_u32 v5, vcc_lo, s20, v1
	v_add_co_ci_u32_e32 v6, vcc_lo, s21, v2, vcc_lo
	global_load_b32 v3, v[3:4], off
	global_load_b32 v4, v[5:6], off
	s_waitcnt vmcnt(1)
	v_subrev_nc_u32_e32 v32, s30, v3
	s_waitcnt vmcnt(0)
	v_add_nc_u32_e32 v16, v31, v4
	s_delay_alu instid0(VALU_DEP_1)
	v_cmpx_lt_i32_e64 v16, v32
	s_cbranch_execz .LBB59_3
; %bb.7:                                ;   in Loop: Header=BB59_5 Depth=1
	v_add_co_u32 v3, vcc_lo, s14, v1
	v_add_co_ci_u32_e32 v4, vcc_lo, s15, v2, vcc_lo
	v_add_co_u32 v1, vcc_lo, s12, v1
	v_add_co_ci_u32_e32 v2, vcc_lo, s13, v2, vcc_lo
	s_mov_b32 s35, 0
	global_load_b32 v3, v[3:4], off
	global_load_b32 v1, v[1:2], off
	s_waitcnt vmcnt(1)
	v_subrev_nc_u32_e32 v33, s30, v3
	s_waitcnt vmcnt(0)
	v_subrev_nc_u32_e32 v34, s30, v1
	v_cmp_lt_i32_e64 s2, v1, v3
	s_branch .LBB59_9
.LBB59_8:                               ;   in Loop: Header=BB59_9 Depth=2
	s_or_b32 exec_lo, exec_lo, s3
	v_cmp_nlg_f64_e64 s36, 0x7ff00000, |v[5:6]|
	v_cmp_gt_f64_e32 vcc_lo, v[13:14], v[5:6]
	s_delay_alu instid0(VALU_DEP_2) | instskip(SKIP_2) | instid1(VALU_DEP_2)
	s_or_b32 vcc_lo, s36, vcc_lo
	v_dual_cndmask_b32 v13, v5, v13 :: v_dual_add_nc_u32 v16, 8, v16
	v_cndmask_b32_e32 v14, v6, v14, vcc_lo
	v_cmp_ge_i32_e64 s3, v16, v32
	s_delay_alu instid0(VALU_DEP_1) | instskip(NEXT) | instid1(SALU_CYCLE_1)
	s_or_b32 s35, s3, s35
	s_and_not1_b32 exec_lo, exec_lo, s35
	s_cbranch_execz .LBB59_2
.LBB59_9:                               ;   Parent Loop BB59_5 Depth=1
                                        ; =>  This Loop Header: Depth=2
                                        ;       Child Loop BB59_12 Depth 3
                                        ;       Child Loop BB59_32 Depth 3
	;; [unrolled: 1-line block ×3, first 2 shown]
	v_ashrrev_i32_e32 v17, 31, v16
	v_mov_b32_e32 v22, 0
	v_mov_b32_e32 v23, 0
	s_delay_alu instid0(VALU_DEP_3) | instskip(SKIP_1) | instid1(VALU_DEP_2)
	v_lshlrev_b64 v[1:2], 2, v[16:17]
	v_lshlrev_b64 v[17:18], 4, v[16:17]
	v_add_co_u32 v1, vcc_lo, s24, v1
	s_delay_alu instid0(VALU_DEP_3) | instskip(SKIP_3) | instid1(VALU_DEP_1)
	v_add_co_ci_u32_e32 v2, vcc_lo, s25, v2, vcc_lo
	global_load_b32 v35, v[1:2], off
	s_waitcnt vmcnt(0)
	v_subrev_nc_u32_e32 v19, s30, v35
	v_ashrrev_i32_e32 v20, 31, v19
	s_delay_alu instid0(VALU_DEP_1) | instskip(NEXT) | instid1(VALU_DEP_1)
	v_lshlrev_b64 v[1:2], 2, v[19:20]
	v_add_co_u32 v3, vcc_lo, s14, v1
	s_delay_alu instid0(VALU_DEP_2)
	v_add_co_ci_u32_e32 v4, vcc_lo, s15, v2, vcc_lo
	v_add_co_u32 v5, vcc_lo, s4, v1
	v_add_co_ci_u32_e32 v6, vcc_lo, s5, v2, vcc_lo
	global_load_b32 v3, v[3:4], off
	v_add_co_u32 v1, vcc_lo, s18, v1
	v_add_co_ci_u32_e32 v2, vcc_lo, s19, v2, vcc_lo
	v_add_co_u32 v7, vcc_lo, s26, v17
	v_add_co_ci_u32_e32 v8, vcc_lo, s27, v18, vcc_lo
	global_load_b32 v20, v[5:6], off
	global_load_b32 v21, v[1:2], off
	s_waitcnt vmcnt(2)
	v_subrev_nc_u32_e32 v3, s30, v3
	s_delay_alu instid0(VALU_DEP_1)
	v_ashrrev_i32_e32 v4, 31, v3
	s_waitcnt vmcnt(1)
	v_subrev_nc_u32_e32 v36, s30, v20
	s_waitcnt vmcnt(0)
	v_subrev_nc_u32_e32 v24, s30, v21
	v_lshlrev_b64 v[3:4], 4, v[3:4]
	s_delay_alu instid0(VALU_DEP_1) | instskip(NEXT) | instid1(VALU_DEP_2)
	v_add_co_u32 v1, vcc_lo, s10, v3
	v_add_co_ci_u32_e32 v2, vcc_lo, s11, v4, vcc_lo
	v_cmp_lt_i32_e32 vcc_lo, v21, v20
	v_mov_b32_e32 v20, v34
	global_load_b128 v[9:12], v[7:8], off
	global_load_b128 v[5:8], v[1:2], off
	v_dual_mov_b32 v27, v23 :: v_dual_mov_b32 v26, v22
	s_and_b32 s3, s2, vcc_lo
	s_delay_alu instid0(SALU_CYCLE_1)
	s_and_saveexec_b32 s36, s3
	s_cbranch_execz .LBB59_15
; %bb.10:                               ;   in Loop: Header=BB59_9 Depth=2
	v_mov_b32_e32 v22, 0
	v_dual_mov_b32 v23, 0 :: v_dual_mov_b32 v20, v34
	s_mov_b32 s37, 0
	s_delay_alu instid0(VALU_DEP_1)
	v_dual_mov_b32 v27, v23 :: v_dual_mov_b32 v26, v22
	s_branch .LBB59_12
.LBB59_11:                              ;   in Loop: Header=BB59_12 Depth=3
	s_or_b32 exec_lo, exec_lo, s3
	v_cmp_le_i32_e32 vcc_lo, v3, v4
	v_add_co_ci_u32_e32 v20, vcc_lo, 0, v20, vcc_lo
	v_cmp_ge_i32_e32 vcc_lo, v3, v4
	v_add_co_ci_u32_e32 v24, vcc_lo, 0, v24, vcc_lo
	s_delay_alu instid0(VALU_DEP_3) | instskip(NEXT) | instid1(VALU_DEP_2)
	v_cmp_ge_i32_e32 vcc_lo, v20, v33
	v_cmp_ge_i32_e64 s3, v24, v36
	s_delay_alu instid0(VALU_DEP_1) | instskip(NEXT) | instid1(SALU_CYCLE_1)
	s_or_b32 s3, vcc_lo, s3
	s_and_b32 s3, exec_lo, s3
	s_delay_alu instid0(SALU_CYCLE_1) | instskip(NEXT) | instid1(SALU_CYCLE_1)
	s_or_b32 s37, s3, s37
	s_and_not1_b32 exec_lo, exec_lo, s37
	s_cbranch_execz .LBB59_14
.LBB59_12:                              ;   Parent Loop BB59_5 Depth=1
                                        ;     Parent Loop BB59_9 Depth=2
                                        ; =>    This Inner Loop Header: Depth=3
	s_delay_alu instid0(VALU_DEP_2) | instskip(SKIP_2) | instid1(VALU_DEP_2)
	v_ashrrev_i32_e32 v21, 31, v20
	v_ashrrev_i32_e32 v25, 31, v24
	s_mov_b32 s3, exec_lo
	v_lshlrev_b64 v[3:4], 2, v[20:21]
	s_delay_alu instid0(VALU_DEP_2) | instskip(NEXT) | instid1(VALU_DEP_2)
	v_lshlrev_b64 v[1:2], 2, v[24:25]
	v_add_co_u32 v3, vcc_lo, s16, v3
	s_delay_alu instid0(VALU_DEP_3) | instskip(NEXT) | instid1(VALU_DEP_3)
	v_add_co_ci_u32_e32 v4, vcc_lo, s17, v4, vcc_lo
	v_add_co_u32 v37, vcc_lo, s6, v1
	s_delay_alu instid0(VALU_DEP_4)
	v_add_co_ci_u32_e32 v38, vcc_lo, s7, v2, vcc_lo
	global_load_b32 v3, v[3:4], off
	global_load_b32 v4, v[37:38], off
	s_waitcnt vmcnt(0)
	v_cmpx_eq_u32_e64 v3, v4
	s_cbranch_execz .LBB59_11
; %bb.13:                               ;   in Loop: Header=BB59_12 Depth=3
	v_add_co_u32 v1, vcc_lo, s8, v1
	v_add_co_ci_u32_e32 v2, vcc_lo, s9, v2, vcc_lo
	v_lshlrev_b64 v[37:38], 4, v[20:21]
	global_load_b32 v1, v[1:2], off
	v_add_co_u32 v37, vcc_lo, s10, v37
	v_add_co_ci_u32_e32 v38, vcc_lo, s11, v38, vcc_lo
	s_waitcnt vmcnt(0)
	v_ashrrev_i32_e32 v2, 31, v1
	s_delay_alu instid0(VALU_DEP_1) | instskip(NEXT) | instid1(VALU_DEP_1)
	v_lshlrev_b64 v[1:2], 4, v[1:2]
	v_add_co_u32 v1, vcc_lo, s10, v1
	s_delay_alu instid0(VALU_DEP_2)
	v_add_co_ci_u32_e32 v2, vcc_lo, s11, v2, vcc_lo
	s_clause 0x1
	global_load_b128 v[37:40], v[37:38], off
	global_load_b128 v[41:44], v[1:2], off
	s_waitcnt vmcnt(0)
	v_fma_f64 v[1:2], v[37:38], v[41:42], v[22:23]
	v_fma_f64 v[25:26], v[39:40], v[41:42], v[26:27]
	s_delay_alu instid0(VALU_DEP_2) | instskip(NEXT) | instid1(VALU_DEP_2)
	v_fma_f64 v[22:23], -v[39:40], v[43:44], v[1:2]
	v_fma_f64 v[26:27], v[37:38], v[43:44], v[25:26]
	s_branch .LBB59_11
.LBB59_14:                              ;   in Loop: Header=BB59_9 Depth=2
	s_or_b32 exec_lo, exec_lo, s37
.LBB59_15:                              ;   in Loop: Header=BB59_9 Depth=2
	s_delay_alu instid0(SALU_CYCLE_1)
	s_or_b32 exec_lo, exec_lo, s36
	s_waitcnt vmcnt(1)
	v_add_f64 v[1:2], v[9:10], -v[22:23]
	v_add_f64 v[3:4], v[11:12], -v[26:27]
	s_mov_b32 s3, exec_lo
	v_cmpx_gt_i32_e64 v15, v19
	s_cbranch_execz .LBB59_17
; %bb.16:                               ;   in Loop: Header=BB59_9 Depth=2
	s_waitcnt vmcnt(0)
	v_mul_f64 v[37:38], v[7:8], v[7:8]
	s_delay_alu instid0(VALU_DEP_1) | instskip(NEXT) | instid1(VALU_DEP_1)
	v_fma_f64 v[37:38], v[5:6], v[5:6], v[37:38]
	v_div_scale_f64 v[39:40], null, v[37:38], v[37:38], 1.0
	v_div_scale_f64 v[45:46], vcc_lo, 1.0, v[37:38], 1.0
	s_delay_alu instid0(VALU_DEP_2) | instskip(SKIP_2) | instid1(VALU_DEP_1)
	v_rcp_f64_e32 v[41:42], v[39:40]
	s_waitcnt_depctr 0xfff
	v_fma_f64 v[43:44], -v[39:40], v[41:42], 1.0
	v_fma_f64 v[41:42], v[41:42], v[43:44], v[41:42]
	s_delay_alu instid0(VALU_DEP_1) | instskip(NEXT) | instid1(VALU_DEP_1)
	v_fma_f64 v[43:44], -v[39:40], v[41:42], 1.0
	v_fma_f64 v[41:42], v[41:42], v[43:44], v[41:42]
	s_delay_alu instid0(VALU_DEP_1) | instskip(NEXT) | instid1(VALU_DEP_1)
	v_mul_f64 v[43:44], v[45:46], v[41:42]
	v_fma_f64 v[39:40], -v[39:40], v[43:44], v[45:46]
	s_delay_alu instid0(VALU_DEP_1) | instskip(SKIP_2) | instid1(VALU_DEP_3)
	v_div_fmas_f64 v[39:40], v[39:40], v[41:42], v[43:44]
	v_mul_f64 v[41:42], v[7:8], v[3:4]
	v_mul_f64 v[43:44], v[7:8], -v[1:2]
	v_div_fixup_f64 v[37:38], v[39:40], v[37:38], 1.0
	s_delay_alu instid0(VALU_DEP_3) | instskip(NEXT) | instid1(VALU_DEP_3)
	v_fma_f64 v[1:2], v[1:2], v[5:6], v[41:42]
	v_fma_f64 v[3:4], v[3:4], v[5:6], v[43:44]
	s_delay_alu instid0(VALU_DEP_2) | instskip(NEXT) | instid1(VALU_DEP_2)
	v_mul_f64 v[1:2], v[37:38], v[1:2]
	v_mul_f64 v[3:4], v[37:38], v[3:4]
.LBB59_17:                              ;   in Loop: Header=BB59_9 Depth=2
	s_or_b32 exec_lo, exec_lo, s3
	v_add_f64 v[22:23], v[22:23], -v[9:10]
	v_add_f64 v[9:10], v[26:27], -v[11:12]
	s_mov_b32 s36, exec_lo
	v_cmpx_lt_i32_e64 v24, v36
	s_cbranch_execnz .LBB59_30
; %bb.18:                               ;   in Loop: Header=BB59_9 Depth=2
	s_or_b32 exec_lo, exec_lo, s36
	s_delay_alu instid0(SALU_CYCLE_1)
	s_mov_b32 s36, exec_lo
	v_cmpx_lt_i32_e64 v20, v33
	s_cbranch_execnz .LBB59_42
.LBB59_19:                              ;   in Loop: Header=BB59_9 Depth=2
	s_or_b32 exec_lo, exec_lo, s36
	s_delay_alu instid0(SALU_CYCLE_1)
	s_mov_b32 s3, exec_lo
	v_cmpx_eq_u32_e64 v15, v19
	s_cbranch_execz .LBB59_21
.LBB59_20:                              ;   in Loop: Header=BB59_9 Depth=2
	s_waitcnt vmcnt(0)
	s_delay_alu instid0(VALU_DEP_3) | instskip(NEXT) | instid1(VALU_DEP_3)
	v_add_f64 v[22:23], v[5:6], v[22:23]
	v_add_f64 v[9:10], v[7:8], v[9:10]
.LBB59_21:                              ;   in Loop: Header=BB59_9 Depth=2
	s_or_b32 exec_lo, exec_lo, s3
	s_delay_alu instid0(VALU_DEP_2) | instskip(NEXT) | instid1(VALU_DEP_2)
	v_cmp_gt_f64_e32 vcc_lo, 0, v[22:23]
	v_cmp_gt_f64_e64 s3, 0, v[9:10]
	s_waitcnt vmcnt(0)
	v_xor_b32_e32 v5, 0x80000000, v23
	v_xor_b32_e32 v6, 0x80000000, v10
	s_delay_alu instid0(VALU_DEP_2) | instskip(NEXT) | instid1(VALU_DEP_2)
	v_dual_cndmask_b32 v8, v23, v5 :: v_dual_cndmask_b32 v7, v22, v22
	v_cndmask_b32_e64 v12, v10, v6, s3
	v_cndmask_b32_e64 v11, v9, v9, s3
	s_mov_b32 s3, exec_lo
                                        ; implicit-def: $vgpr5_vgpr6
	s_delay_alu instid0(VALU_DEP_1)
	v_cmpx_ngt_f64_e32 v[7:8], v[11:12]
	s_xor_b32 s3, exec_lo, s3
	s_cbranch_execz .LBB59_25
; %bb.22:                               ;   in Loop: Header=BB59_9 Depth=2
	v_mov_b32_e32 v5, 0
	v_mov_b32_e32 v6, 0
	s_mov_b32 s36, exec_lo
	v_cmpx_neq_f64_e32 0, v[9:10]
	s_cbranch_execz .LBB59_24
; %bb.23:                               ;   in Loop: Header=BB59_9 Depth=2
	v_div_scale_f64 v[5:6], null, v[11:12], v[11:12], v[7:8]
	v_div_scale_f64 v[21:22], vcc_lo, v[7:8], v[11:12], v[7:8]
	s_delay_alu instid0(VALU_DEP_2) | instskip(SKIP_2) | instid1(VALU_DEP_1)
	v_rcp_f64_e32 v[9:10], v[5:6]
	s_waitcnt_depctr 0xfff
	v_fma_f64 v[19:20], -v[5:6], v[9:10], 1.0
	v_fma_f64 v[9:10], v[9:10], v[19:20], v[9:10]
	s_delay_alu instid0(VALU_DEP_1) | instskip(NEXT) | instid1(VALU_DEP_1)
	v_fma_f64 v[19:20], -v[5:6], v[9:10], 1.0
	v_fma_f64 v[9:10], v[9:10], v[19:20], v[9:10]
	s_delay_alu instid0(VALU_DEP_1) | instskip(NEXT) | instid1(VALU_DEP_1)
	v_mul_f64 v[19:20], v[21:22], v[9:10]
	v_fma_f64 v[5:6], -v[5:6], v[19:20], v[21:22]
	s_delay_alu instid0(VALU_DEP_1) | instskip(NEXT) | instid1(VALU_DEP_1)
	v_div_fmas_f64 v[5:6], v[5:6], v[9:10], v[19:20]
	v_div_fixup_f64 v[5:6], v[5:6], v[11:12], v[7:8]
	s_delay_alu instid0(VALU_DEP_1) | instskip(NEXT) | instid1(VALU_DEP_1)
	v_fma_f64 v[5:6], v[5:6], v[5:6], 1.0
	v_cmp_gt_f64_e32 vcc_lo, 0x10000000, v[5:6]
	v_cndmask_b32_e64 v7, 0, 1, vcc_lo
	s_delay_alu instid0(VALU_DEP_1) | instskip(NEXT) | instid1(VALU_DEP_1)
	v_lshlrev_b32_e32 v7, 8, v7
	v_ldexp_f64 v[5:6], v[5:6], v7
	s_delay_alu instid0(VALU_DEP_1) | instskip(SKIP_3) | instid1(VALU_DEP_1)
	v_rsq_f64_e32 v[7:8], v[5:6]
	s_waitcnt_depctr 0xfff
	v_mul_f64 v[9:10], v[5:6], v[7:8]
	v_mul_f64 v[7:8], v[7:8], 0.5
	v_fma_f64 v[19:20], -v[7:8], v[9:10], 0.5
	s_delay_alu instid0(VALU_DEP_1) | instskip(SKIP_1) | instid1(VALU_DEP_2)
	v_fma_f64 v[9:10], v[9:10], v[19:20], v[9:10]
	v_fma_f64 v[7:8], v[7:8], v[19:20], v[7:8]
	v_fma_f64 v[19:20], -v[9:10], v[9:10], v[5:6]
	s_delay_alu instid0(VALU_DEP_1) | instskip(NEXT) | instid1(VALU_DEP_1)
	v_fma_f64 v[9:10], v[19:20], v[7:8], v[9:10]
	v_fma_f64 v[19:20], -v[9:10], v[9:10], v[5:6]
	s_delay_alu instid0(VALU_DEP_1) | instskip(SKIP_2) | instid1(VALU_DEP_2)
	v_fma_f64 v[7:8], v[19:20], v[7:8], v[9:10]
	v_cndmask_b32_e64 v9, 0, 0xffffff80, vcc_lo
	v_cmp_class_f64_e64 vcc_lo, v[5:6], 0x260
	v_ldexp_f64 v[7:8], v[7:8], v9
	s_delay_alu instid0(VALU_DEP_1) | instskip(NEXT) | instid1(VALU_DEP_1)
	v_dual_cndmask_b32 v6, v8, v6 :: v_dual_cndmask_b32 v5, v7, v5
	v_mul_f64 v[5:6], v[11:12], v[5:6]
.LBB59_24:                              ;   in Loop: Header=BB59_9 Depth=2
	s_or_b32 exec_lo, exec_lo, s36
                                        ; implicit-def: $vgpr7_vgpr8
                                        ; implicit-def: $vgpr11_vgpr12
.LBB59_25:                              ;   in Loop: Header=BB59_9 Depth=2
	s_and_not1_saveexec_b32 s3, s3
	s_cbranch_execz .LBB59_27
; %bb.26:                               ;   in Loop: Header=BB59_9 Depth=2
	v_div_scale_f64 v[5:6], null, v[7:8], v[7:8], v[11:12]
	v_div_scale_f64 v[21:22], vcc_lo, v[11:12], v[7:8], v[11:12]
	s_delay_alu instid0(VALU_DEP_2) | instskip(SKIP_2) | instid1(VALU_DEP_1)
	v_rcp_f64_e32 v[9:10], v[5:6]
	s_waitcnt_depctr 0xfff
	v_fma_f64 v[19:20], -v[5:6], v[9:10], 1.0
	v_fma_f64 v[9:10], v[9:10], v[19:20], v[9:10]
	s_delay_alu instid0(VALU_DEP_1) | instskip(NEXT) | instid1(VALU_DEP_1)
	v_fma_f64 v[19:20], -v[5:6], v[9:10], 1.0
	v_fma_f64 v[9:10], v[9:10], v[19:20], v[9:10]
	s_delay_alu instid0(VALU_DEP_1) | instskip(NEXT) | instid1(VALU_DEP_1)
	v_mul_f64 v[19:20], v[21:22], v[9:10]
	v_fma_f64 v[5:6], -v[5:6], v[19:20], v[21:22]
	s_delay_alu instid0(VALU_DEP_1) | instskip(NEXT) | instid1(VALU_DEP_1)
	v_div_fmas_f64 v[5:6], v[5:6], v[9:10], v[19:20]
	v_div_fixup_f64 v[5:6], v[5:6], v[7:8], v[11:12]
	s_delay_alu instid0(VALU_DEP_1) | instskip(NEXT) | instid1(VALU_DEP_1)
	v_fma_f64 v[5:6], v[5:6], v[5:6], 1.0
	v_cmp_gt_f64_e32 vcc_lo, 0x10000000, v[5:6]
	v_cndmask_b32_e64 v9, 0, 1, vcc_lo
	s_delay_alu instid0(VALU_DEP_1) | instskip(NEXT) | instid1(VALU_DEP_1)
	v_lshlrev_b32_e32 v9, 8, v9
	v_ldexp_f64 v[5:6], v[5:6], v9
	s_delay_alu instid0(VALU_DEP_1) | instskip(SKIP_3) | instid1(VALU_DEP_1)
	v_rsq_f64_e32 v[9:10], v[5:6]
	s_waitcnt_depctr 0xfff
	v_mul_f64 v[11:12], v[5:6], v[9:10]
	v_mul_f64 v[9:10], v[9:10], 0.5
	v_fma_f64 v[19:20], -v[9:10], v[11:12], 0.5
	s_delay_alu instid0(VALU_DEP_1) | instskip(SKIP_1) | instid1(VALU_DEP_2)
	v_fma_f64 v[11:12], v[11:12], v[19:20], v[11:12]
	v_fma_f64 v[9:10], v[9:10], v[19:20], v[9:10]
	v_fma_f64 v[19:20], -v[11:12], v[11:12], v[5:6]
	s_delay_alu instid0(VALU_DEP_1) | instskip(NEXT) | instid1(VALU_DEP_1)
	v_fma_f64 v[11:12], v[19:20], v[9:10], v[11:12]
	v_fma_f64 v[19:20], -v[11:12], v[11:12], v[5:6]
	s_delay_alu instid0(VALU_DEP_1) | instskip(SKIP_2) | instid1(VALU_DEP_2)
	v_fma_f64 v[9:10], v[19:20], v[9:10], v[11:12]
	v_cndmask_b32_e64 v11, 0, 0xffffff80, vcc_lo
	v_cmp_class_f64_e64 vcc_lo, v[5:6], 0x260
	v_ldexp_f64 v[9:10], v[9:10], v11
	s_delay_alu instid0(VALU_DEP_1) | instskip(NEXT) | instid1(VALU_DEP_1)
	v_dual_cndmask_b32 v6, v10, v6 :: v_dual_cndmask_b32 v5, v9, v5
	v_mul_f64 v[5:6], v[7:8], v[5:6]
.LBB59_27:                              ;   in Loop: Header=BB59_9 Depth=2
	s_or_b32 exec_lo, exec_lo, s3
	v_cmp_gt_f64_e32 vcc_lo, 0, v[1:2]
	v_cmp_gt_f64_e64 s3, 0, v[3:4]
	v_xor_b32_e32 v7, 0x80000000, v2
	v_xor_b32_e32 v9, 0x80000000, v4
                                        ; implicit-def: $vgpr11_vgpr12
	s_delay_alu instid0(VALU_DEP_2) | instskip(NEXT) | instid1(VALU_DEP_2)
	v_dual_cndmask_b32 v8, v2, v7 :: v_dual_cndmask_b32 v7, v1, v1
	v_cndmask_b32_e64 v10, v4, v9, s3
	v_cndmask_b32_e64 v9, v3, v3, s3
	s_mov_b32 s3, exec_lo
	s_delay_alu instid0(VALU_DEP_1)
	v_cmpx_ngt_f64_e32 v[7:8], v[9:10]
	s_xor_b32 s3, exec_lo, s3
	s_cbranch_execnz .LBB59_34
; %bb.28:                               ;   in Loop: Header=BB59_9 Depth=2
	s_and_not1_saveexec_b32 s3, s3
	s_cbranch_execnz .LBB59_37
.LBB59_29:                              ;   in Loop: Header=BB59_9 Depth=2
	s_or_b32 exec_lo, exec_lo, s3
	s_delay_alu instid0(VALU_DEP_1) | instskip(NEXT) | instid1(VALU_DEP_1)
	v_cmp_class_f64_e64 s36, v[11:12], 0x1f8
	s_and_saveexec_b32 s3, s36
	s_cbranch_execz .LBB59_8
	s_branch .LBB59_38
.LBB59_30:                              ;   in Loop: Header=BB59_9 Depth=2
	v_ashrrev_i32_e32 v25, 31, v24
	s_mov_b32 s38, 0
                                        ; implicit-def: $sgpr37
                                        ; implicit-def: $sgpr40
                                        ; implicit-def: $sgpr39
	s_delay_alu instid0(VALU_DEP_1) | instskip(NEXT) | instid1(VALU_DEP_1)
	v_lshlrev_b64 v[11:12], 2, v[24:25]
	v_add_co_u32 v11, vcc_lo, s6, v11
	s_delay_alu instid0(VALU_DEP_2)
	v_add_co_ci_u32_e32 v12, vcc_lo, s7, v12, vcc_lo
	s_set_inst_prefetch_distance 0x1
	s_branch .LBB59_32
	.p2align	6
.LBB59_31:                              ;   in Loop: Header=BB59_32 Depth=3
	s_or_b32 exec_lo, exec_lo, s41
	s_delay_alu instid0(SALU_CYCLE_1) | instskip(NEXT) | instid1(SALU_CYCLE_1)
	s_and_b32 s3, exec_lo, s40
	s_or_b32 s38, s3, s38
	s_and_not1_b32 s3, s37, exec_lo
	s_and_b32 s37, s39, exec_lo
	s_delay_alu instid0(SALU_CYCLE_1)
	s_or_b32 s37, s3, s37
	s_and_not1_b32 exec_lo, exec_lo, s38
	s_cbranch_execz .LBB59_39
.LBB59_32:                              ;   Parent Loop BB59_5 Depth=1
                                        ;     Parent Loop BB59_9 Depth=2
                                        ; =>    This Inner Loop Header: Depth=3
	global_load_b32 v21, v[11:12], off
	v_dual_mov_b32 v27, v25 :: v_dual_mov_b32 v26, v24
	s_or_b32 s39, s39, exec_lo
	s_or_b32 s40, s40, exec_lo
	s_mov_b32 s41, exec_lo
                                        ; implicit-def: $vgpr24_vgpr25
	s_waitcnt vmcnt(0)
	v_subrev_nc_u32_e32 v21, s30, v21
	s_delay_alu instid0(VALU_DEP_1)
	v_cmpx_ne_u32_e64 v21, v15
	s_cbranch_execz .LBB59_31
; %bb.33:                               ;   in Loop: Header=BB59_32 Depth=3
	v_add_co_u32 v24, vcc_lo, v26, 1
	v_add_co_ci_u32_e32 v25, vcc_lo, 0, v27, vcc_lo
	v_add_co_u32 v11, s3, v11, 4
	s_delay_alu instid0(VALU_DEP_3) | instskip(SKIP_4) | instid1(SALU_CYCLE_1)
	v_cmp_ge_i32_e32 vcc_lo, v24, v36
	v_add_co_ci_u32_e64 v12, s3, 0, v12, s3
	s_and_not1_b32 s3, s40, exec_lo
	s_and_not1_b32 s39, s39, exec_lo
	s_and_b32 s40, vcc_lo, exec_lo
	s_or_b32 s40, s3, s40
	s_branch .LBB59_31
.LBB59_34:                              ;   in Loop: Header=BB59_9 Depth=2
	v_mov_b32_e32 v11, 0
	v_mov_b32_e32 v12, 0
	s_mov_b32 s36, exec_lo
	v_cmpx_neq_f64_e32 0, v[3:4]
	s_cbranch_execz .LBB59_36
; %bb.35:                               ;   in Loop: Header=BB59_9 Depth=2
	v_div_scale_f64 v[11:12], null, v[9:10], v[9:10], v[7:8]
	v_div_scale_f64 v[23:24], vcc_lo, v[7:8], v[9:10], v[7:8]
	s_delay_alu instid0(VALU_DEP_2) | instskip(SKIP_2) | instid1(VALU_DEP_1)
	v_rcp_f64_e32 v[19:20], v[11:12]
	s_waitcnt_depctr 0xfff
	v_fma_f64 v[21:22], -v[11:12], v[19:20], 1.0
	v_fma_f64 v[19:20], v[19:20], v[21:22], v[19:20]
	s_delay_alu instid0(VALU_DEP_1) | instskip(NEXT) | instid1(VALU_DEP_1)
	v_fma_f64 v[21:22], -v[11:12], v[19:20], 1.0
	v_fma_f64 v[19:20], v[19:20], v[21:22], v[19:20]
	s_delay_alu instid0(VALU_DEP_1) | instskip(NEXT) | instid1(VALU_DEP_1)
	v_mul_f64 v[21:22], v[23:24], v[19:20]
	v_fma_f64 v[11:12], -v[11:12], v[21:22], v[23:24]
	s_delay_alu instid0(VALU_DEP_1) | instskip(NEXT) | instid1(VALU_DEP_1)
	v_div_fmas_f64 v[11:12], v[11:12], v[19:20], v[21:22]
	v_div_fixup_f64 v[7:8], v[11:12], v[9:10], v[7:8]
	s_delay_alu instid0(VALU_DEP_1) | instskip(NEXT) | instid1(VALU_DEP_1)
	v_fma_f64 v[7:8], v[7:8], v[7:8], 1.0
	v_cmp_gt_f64_e32 vcc_lo, 0x10000000, v[7:8]
	v_cndmask_b32_e64 v11, 0, 1, vcc_lo
	s_delay_alu instid0(VALU_DEP_1) | instskip(NEXT) | instid1(VALU_DEP_1)
	v_lshlrev_b32_e32 v11, 8, v11
	v_ldexp_f64 v[7:8], v[7:8], v11
	s_delay_alu instid0(VALU_DEP_1) | instskip(SKIP_3) | instid1(VALU_DEP_1)
	v_rsq_f64_e32 v[11:12], v[7:8]
	s_waitcnt_depctr 0xfff
	v_mul_f64 v[19:20], v[7:8], v[11:12]
	v_mul_f64 v[11:12], v[11:12], 0.5
	v_fma_f64 v[21:22], -v[11:12], v[19:20], 0.5
	s_delay_alu instid0(VALU_DEP_1) | instskip(SKIP_1) | instid1(VALU_DEP_2)
	v_fma_f64 v[19:20], v[19:20], v[21:22], v[19:20]
	v_fma_f64 v[11:12], v[11:12], v[21:22], v[11:12]
	v_fma_f64 v[21:22], -v[19:20], v[19:20], v[7:8]
	s_delay_alu instid0(VALU_DEP_1) | instskip(NEXT) | instid1(VALU_DEP_1)
	v_fma_f64 v[19:20], v[21:22], v[11:12], v[19:20]
	v_fma_f64 v[21:22], -v[19:20], v[19:20], v[7:8]
	s_delay_alu instid0(VALU_DEP_1) | instskip(SKIP_2) | instid1(VALU_DEP_2)
	v_fma_f64 v[11:12], v[21:22], v[11:12], v[19:20]
	v_cndmask_b32_e64 v19, 0, 0xffffff80, vcc_lo
	v_cmp_class_f64_e64 vcc_lo, v[7:8], 0x260
	v_ldexp_f64 v[11:12], v[11:12], v19
	s_delay_alu instid0(VALU_DEP_1) | instskip(NEXT) | instid1(VALU_DEP_1)
	v_dual_cndmask_b32 v8, v12, v8 :: v_dual_cndmask_b32 v7, v11, v7
	v_mul_f64 v[11:12], v[9:10], v[7:8]
.LBB59_36:                              ;   in Loop: Header=BB59_9 Depth=2
	s_or_b32 exec_lo, exec_lo, s36
                                        ; implicit-def: $vgpr7_vgpr8
                                        ; implicit-def: $vgpr9_vgpr10
	s_and_not1_saveexec_b32 s3, s3
	s_cbranch_execz .LBB59_29
.LBB59_37:                              ;   in Loop: Header=BB59_9 Depth=2
	v_div_scale_f64 v[11:12], null, v[7:8], v[7:8], v[9:10]
	v_div_scale_f64 v[23:24], vcc_lo, v[9:10], v[7:8], v[9:10]
	s_delay_alu instid0(VALU_DEP_2) | instskip(SKIP_2) | instid1(VALU_DEP_1)
	v_rcp_f64_e32 v[19:20], v[11:12]
	s_waitcnt_depctr 0xfff
	v_fma_f64 v[21:22], -v[11:12], v[19:20], 1.0
	v_fma_f64 v[19:20], v[19:20], v[21:22], v[19:20]
	s_delay_alu instid0(VALU_DEP_1) | instskip(NEXT) | instid1(VALU_DEP_1)
	v_fma_f64 v[21:22], -v[11:12], v[19:20], 1.0
	v_fma_f64 v[19:20], v[19:20], v[21:22], v[19:20]
	s_delay_alu instid0(VALU_DEP_1) | instskip(NEXT) | instid1(VALU_DEP_1)
	v_mul_f64 v[21:22], v[23:24], v[19:20]
	v_fma_f64 v[11:12], -v[11:12], v[21:22], v[23:24]
	s_delay_alu instid0(VALU_DEP_1) | instskip(NEXT) | instid1(VALU_DEP_1)
	v_div_fmas_f64 v[11:12], v[11:12], v[19:20], v[21:22]
	v_div_fixup_f64 v[9:10], v[11:12], v[7:8], v[9:10]
	s_delay_alu instid0(VALU_DEP_1) | instskip(NEXT) | instid1(VALU_DEP_1)
	v_fma_f64 v[9:10], v[9:10], v[9:10], 1.0
	v_cmp_gt_f64_e32 vcc_lo, 0x10000000, v[9:10]
	v_cndmask_b32_e64 v11, 0, 1, vcc_lo
	s_delay_alu instid0(VALU_DEP_1) | instskip(NEXT) | instid1(VALU_DEP_1)
	v_lshlrev_b32_e32 v11, 8, v11
	v_ldexp_f64 v[9:10], v[9:10], v11
	s_delay_alu instid0(VALU_DEP_1) | instskip(SKIP_3) | instid1(VALU_DEP_1)
	v_rsq_f64_e32 v[11:12], v[9:10]
	s_waitcnt_depctr 0xfff
	v_mul_f64 v[19:20], v[9:10], v[11:12]
	v_mul_f64 v[11:12], v[11:12], 0.5
	v_fma_f64 v[21:22], -v[11:12], v[19:20], 0.5
	s_delay_alu instid0(VALU_DEP_1) | instskip(SKIP_1) | instid1(VALU_DEP_2)
	v_fma_f64 v[19:20], v[19:20], v[21:22], v[19:20]
	v_fma_f64 v[11:12], v[11:12], v[21:22], v[11:12]
	v_fma_f64 v[21:22], -v[19:20], v[19:20], v[9:10]
	s_delay_alu instid0(VALU_DEP_1) | instskip(NEXT) | instid1(VALU_DEP_1)
	v_fma_f64 v[19:20], v[21:22], v[11:12], v[19:20]
	v_fma_f64 v[21:22], -v[19:20], v[19:20], v[9:10]
	s_delay_alu instid0(VALU_DEP_1) | instskip(SKIP_2) | instid1(VALU_DEP_2)
	v_fma_f64 v[11:12], v[21:22], v[11:12], v[19:20]
	v_cndmask_b32_e64 v19, 0, 0xffffff80, vcc_lo
	v_cmp_class_f64_e64 vcc_lo, v[9:10], 0x260
	v_ldexp_f64 v[11:12], v[11:12], v19
	s_delay_alu instid0(VALU_DEP_1) | instskip(NEXT) | instid1(VALU_DEP_1)
	v_dual_cndmask_b32 v10, v12, v10 :: v_dual_cndmask_b32 v9, v11, v9
	v_mul_f64 v[11:12], v[7:8], v[9:10]
	s_or_b32 exec_lo, exec_lo, s3
	s_delay_alu instid0(VALU_DEP_1) | instskip(NEXT) | instid1(VALU_DEP_1)
	v_cmp_class_f64_e64 s36, v[11:12], 0x1f8
	s_and_saveexec_b32 s3, s36
	s_cbranch_execz .LBB59_8
.LBB59_38:                              ;   in Loop: Header=BB59_9 Depth=2
	v_add_co_u32 v7, vcc_lo, s10, v17
	v_add_co_ci_u32_e32 v8, vcc_lo, s11, v18, vcc_lo
	global_store_b128 v[7:8], v[1:4], off
	s_branch .LBB59_8
.LBB59_39:                              ;   in Loop: Header=BB59_9 Depth=2
	s_set_inst_prefetch_distance 0x2
	s_or_b32 exec_lo, exec_lo, s38
	s_and_saveexec_b32 s3, s37
	s_delay_alu instid0(SALU_CYCLE_1)
	s_xor_b32 s3, exec_lo, s3
	s_cbranch_execz .LBB59_41
; %bb.40:                               ;   in Loop: Header=BB59_9 Depth=2
	v_lshlrev_b64 v[11:12], 2, v[26:27]
	s_delay_alu instid0(VALU_DEP_1) | instskip(NEXT) | instid1(VALU_DEP_2)
	v_add_co_u32 v11, vcc_lo, s8, v11
	v_add_co_ci_u32_e32 v12, vcc_lo, s9, v12, vcc_lo
	global_load_b32 v11, v[11:12], off
	s_waitcnt vmcnt(0)
	v_ashrrev_i32_e32 v12, 31, v11
	s_delay_alu instid0(VALU_DEP_1) | instskip(NEXT) | instid1(VALU_DEP_1)
	v_lshlrev_b64 v[11:12], 4, v[11:12]
	v_add_co_u32 v11, vcc_lo, s10, v11
	s_delay_alu instid0(VALU_DEP_2)
	v_add_co_ci_u32_e32 v12, vcc_lo, s11, v12, vcc_lo
	global_load_b128 v[24:27], v[11:12], off
	s_waitcnt vmcnt(0)
	v_add_f64 v[22:23], v[22:23], v[24:25]
	v_add_f64 v[9:10], v[9:10], v[26:27]
.LBB59_41:                              ;   in Loop: Header=BB59_9 Depth=2
	s_or_b32 exec_lo, exec_lo, s3
	s_delay_alu instid0(SALU_CYCLE_1) | instskip(NEXT) | instid1(SALU_CYCLE_1)
	s_or_b32 exec_lo, exec_lo, s36
	s_mov_b32 s36, exec_lo
	v_cmpx_lt_i32_e64 v20, v33
	s_cbranch_execz .LBB59_19
.LBB59_42:                              ;   in Loop: Header=BB59_9 Depth=2
	v_ashrrev_i32_e32 v21, 31, v20
	s_mov_b32 s38, 0
                                        ; implicit-def: $sgpr37
                                        ; implicit-def: $sgpr40
                                        ; implicit-def: $sgpr39
	s_delay_alu instid0(VALU_DEP_1) | instskip(NEXT) | instid1(VALU_DEP_1)
	v_lshlrev_b64 v[11:12], 2, v[20:21]
	v_add_co_u32 v11, vcc_lo, s16, v11
	s_delay_alu instid0(VALU_DEP_2)
	v_add_co_ci_u32_e32 v12, vcc_lo, s17, v12, vcc_lo
	s_set_inst_prefetch_distance 0x1
	s_branch .LBB59_44
	.p2align	6
.LBB59_43:                              ;   in Loop: Header=BB59_44 Depth=3
	s_or_b32 exec_lo, exec_lo, s41
	s_delay_alu instid0(SALU_CYCLE_1) | instskip(NEXT) | instid1(SALU_CYCLE_1)
	s_and_b32 s3, exec_lo, s40
	s_or_b32 s38, s3, s38
	s_and_not1_b32 s3, s37, exec_lo
	s_and_b32 s37, s39, exec_lo
	s_delay_alu instid0(SALU_CYCLE_1)
	s_or_b32 s37, s3, s37
	s_and_not1_b32 exec_lo, exec_lo, s38
	s_cbranch_execz .LBB59_46
.LBB59_44:                              ;   Parent Loop BB59_5 Depth=1
                                        ;     Parent Loop BB59_9 Depth=2
                                        ; =>    This Inner Loop Header: Depth=3
	global_load_b32 v26, v[11:12], off
	v_dual_mov_b32 v25, v21 :: v_dual_mov_b32 v24, v20
	s_or_b32 s39, s39, exec_lo
	s_or_b32 s40, s40, exec_lo
	s_mov_b32 s41, exec_lo
                                        ; implicit-def: $vgpr20_vgpr21
	s_waitcnt vmcnt(0)
	v_cmpx_ne_u32_e64 v26, v35
	s_cbranch_execz .LBB59_43
; %bb.45:                               ;   in Loop: Header=BB59_44 Depth=3
	v_add_co_u32 v20, vcc_lo, v24, 1
	v_add_co_ci_u32_e32 v21, vcc_lo, 0, v25, vcc_lo
	v_add_co_u32 v11, s3, v11, 4
	s_delay_alu instid0(VALU_DEP_3) | instskip(SKIP_4) | instid1(SALU_CYCLE_1)
	v_cmp_ge_i32_e32 vcc_lo, v20, v33
	v_add_co_ci_u32_e64 v12, s3, 0, v12, s3
	s_and_not1_b32 s3, s40, exec_lo
	s_and_not1_b32 s39, s39, exec_lo
	s_and_b32 s40, vcc_lo, exec_lo
	s_or_b32 s40, s3, s40
	s_branch .LBB59_43
.LBB59_46:                              ;   in Loop: Header=BB59_9 Depth=2
	s_set_inst_prefetch_distance 0x2
	s_or_b32 exec_lo, exec_lo, s38
	s_and_saveexec_b32 s3, s37
	s_delay_alu instid0(SALU_CYCLE_1)
	s_xor_b32 s3, exec_lo, s3
	s_cbranch_execz .LBB59_48
; %bb.47:                               ;   in Loop: Header=BB59_9 Depth=2
	v_lshlrev_b64 v[11:12], 4, v[24:25]
	s_delay_alu instid0(VALU_DEP_1) | instskip(NEXT) | instid1(VALU_DEP_2)
	v_add_co_u32 v11, vcc_lo, s10, v11
	v_add_co_ci_u32_e32 v12, vcc_lo, s11, v12, vcc_lo
	global_load_b128 v[24:27], v[11:12], off
	s_waitcnt vmcnt(0)
	v_fma_f64 v[11:12], v[24:25], v[5:6], v[22:23]
	v_fma_f64 v[9:10], v[26:27], v[5:6], v[9:10]
	s_delay_alu instid0(VALU_DEP_2) | instskip(NEXT) | instid1(VALU_DEP_2)
	v_fma_f64 v[22:23], -v[26:27], v[7:8], v[11:12]
	v_fma_f64 v[9:10], v[24:25], v[7:8], v[9:10]
.LBB59_48:                              ;   in Loop: Header=BB59_9 Depth=2
	s_or_b32 exec_lo, exec_lo, s3
	s_delay_alu instid0(SALU_CYCLE_1) | instskip(NEXT) | instid1(SALU_CYCLE_1)
	s_or_b32 exec_lo, exec_lo, s36
	s_mov_b32 s3, exec_lo
	v_cmpx_eq_u32_e64 v15, v19
	s_cbranch_execnz .LBB59_20
	s_branch .LBB59_21
.LBB59_49:
	s_or_b32 exec_lo, exec_lo, s29
	v_mbcnt_lo_u32_b32 v5, -1, 0
	s_delay_alu instid0(VALU_DEP_1) | instskip(SKIP_2) | instid1(VALU_DEP_3)
	v_xor_b32_e32 v1, 4, v5
	v_xor_b32_e32 v3, 2, v5
	;; [unrolled: 1-line block ×3, first 2 shown]
	v_cmp_gt_i32_e32 vcc_lo, 32, v1
	s_delay_alu instid0(VALU_DEP_3) | instskip(SKIP_1) | instid1(VALU_DEP_2)
	v_cmp_gt_i32_e64 s2, 32, v3
	v_cndmask_b32_e32 v1, v5, v1, vcc_lo
	v_cndmask_b32_e64 v3, v5, v3, s2
	v_cmp_gt_i32_e64 s2, 32, v6
	s_delay_alu instid0(VALU_DEP_3) | instskip(NEXT) | instid1(VALU_DEP_2)
	v_lshlrev_b32_e32 v2, 2, v1
	v_cndmask_b32_e64 v5, v5, v6, s2
	s_mov_b32 s2, exec_lo
	ds_bpermute_b32 v1, v2, v13
	ds_bpermute_b32 v2, v2, v14
	v_lshlrev_b32_e32 v5, 2, v5
	s_waitcnt lgkmcnt(0)
	v_cmp_lt_f64_e32 vcc_lo, v[13:14], v[1:2]
	v_dual_cndmask_b32 v2, v14, v2 :: v_dual_lshlrev_b32 v3, 2, v3
	v_cndmask_b32_e32 v1, v13, v1, vcc_lo
	ds_bpermute_b32 v4, v3, v2
	ds_bpermute_b32 v3, v3, v1
	s_waitcnt lgkmcnt(0)
	v_cmp_lt_f64_e32 vcc_lo, v[1:2], v[3:4]
	v_dual_cndmask_b32 v2, v2, v4 :: v_dual_cndmask_b32 v1, v1, v3
	ds_bpermute_b32 v4, v5, v2
	ds_bpermute_b32 v3, v5, v1
	v_cmpx_eq_u32_e32 7, v29
	s_cbranch_execz .LBB59_51
; %bb.50:
	s_waitcnt lgkmcnt(0)
	v_cmp_lt_f64_e32 vcc_lo, v[1:2], v[3:4]
	v_lshlrev_b32_e32 v5, 3, v28
	v_dual_cndmask_b32 v2, v2, v4 :: v_dual_cndmask_b32 v1, v1, v3
	ds_store_b64 v5, v[1:2]
.LBB59_51:
	s_or_b32 exec_lo, exec_lo, s2
	v_lshlrev_b32_e32 v1, 3, v0
	s_mov_b32 s2, exec_lo
	s_waitcnt lgkmcnt(0)
	s_waitcnt_vscnt null, 0x0
	s_barrier
	buffer_gl0_inv
	v_cmpx_gt_u32_e32 64, v0
	s_cbranch_execz .LBB59_53
; %bb.52:
	ds_load_2addr_stride64_b64 v[2:5], v1 offset1:1
	s_waitcnt lgkmcnt(0)
	v_cmp_lt_f64_e32 vcc_lo, v[2:3], v[4:5]
	v_dual_cndmask_b32 v3, v3, v5 :: v_dual_cndmask_b32 v2, v2, v4
	ds_store_b64 v1, v[2:3]
.LBB59_53:
	s_or_b32 exec_lo, exec_lo, s2
	s_delay_alu instid0(SALU_CYCLE_1)
	s_mov_b32 s2, exec_lo
	s_waitcnt lgkmcnt(0)
	s_barrier
	buffer_gl0_inv
	v_cmpx_gt_u32_e32 32, v0
	s_cbranch_execz .LBB59_55
; %bb.54:
	ds_load_2addr_b64 v[2:5], v1 offset1:32
	s_waitcnt lgkmcnt(0)
	v_cmp_lt_f64_e32 vcc_lo, v[2:3], v[4:5]
	v_dual_cndmask_b32 v3, v3, v5 :: v_dual_cndmask_b32 v2, v2, v4
	ds_store_b64 v1, v[2:3]
.LBB59_55:
	s_or_b32 exec_lo, exec_lo, s2
	s_delay_alu instid0(SALU_CYCLE_1)
	s_mov_b32 s2, exec_lo
	s_waitcnt lgkmcnt(0)
	s_barrier
	buffer_gl0_inv
	v_cmpx_gt_u32_e32 16, v0
	s_cbranch_execz .LBB59_57
; %bb.56:
	ds_load_2addr_b64 v[2:5], v1 offset1:16
	s_waitcnt lgkmcnt(0)
	v_cmp_lt_f64_e32 vcc_lo, v[2:3], v[4:5]
	v_dual_cndmask_b32 v3, v3, v5 :: v_dual_cndmask_b32 v2, v2, v4
	ds_store_b64 v1, v[2:3]
.LBB59_57:
	;; [unrolled: 15-line block ×5, first 2 shown]
	s_or_b32 exec_lo, exec_lo, s2
	v_cmp_eq_u32_e32 vcc_lo, 0, v0
	s_waitcnt lgkmcnt(0)
	s_barrier
	buffer_gl0_inv
	s_and_saveexec_b32 s3, vcc_lo
	s_cbranch_execz .LBB59_65
; %bb.64:
	v_mov_b32_e32 v4, 0
	ds_load_b128 v[0:3], v4
	s_waitcnt lgkmcnt(0)
	v_cmp_lt_f64_e64 s2, v[0:1], v[2:3]
	s_delay_alu instid0(VALU_DEP_1)
	v_cndmask_b32_e64 v1, v1, v3, s2
	v_cndmask_b32_e64 v0, v0, v2, s2
	ds_store_b64 v4, v[0:1]
.LBB59_65:
	s_or_b32 exec_lo, exec_lo, s3
	s_waitcnt lgkmcnt(0)
	s_barrier
	buffer_gl0_inv
	s_and_saveexec_b32 s2, vcc_lo
	s_cbranch_execz .LBB59_70
; %bb.66:
	s_load_b128 s[4:7], s[0:1], 0x70
	v_mov_b32_e32 v4, 0
	s_brev_b32 s3, 1
	s_mov_b32 s2, 0
	ds_load_b64 v[0:1], v4
	s_waitcnt lgkmcnt(0)
	s_load_b64 s[0:1], s[6:7], 0x0
	global_load_b64 v[2:3], v4, s[4:5] glc
	s_waitcnt lgkmcnt(0)
	v_div_scale_f64 v[5:6], null, s[0:1], s[0:1], v[0:1]
	s_delay_alu instid0(VALU_DEP_1) | instskip(SKIP_2) | instid1(VALU_DEP_1)
	v_rcp_f64_e32 v[7:8], v[5:6]
	s_waitcnt_depctr 0xfff
	v_fma_f64 v[9:10], -v[5:6], v[7:8], 1.0
	v_fma_f64 v[7:8], v[7:8], v[9:10], v[7:8]
	s_delay_alu instid0(VALU_DEP_1) | instskip(NEXT) | instid1(VALU_DEP_1)
	v_fma_f64 v[9:10], -v[5:6], v[7:8], 1.0
	v_fma_f64 v[7:8], v[7:8], v[9:10], v[7:8]
	v_div_scale_f64 v[9:10], vcc_lo, v[0:1], s[0:1], v[0:1]
	s_delay_alu instid0(VALU_DEP_1) | instskip(NEXT) | instid1(VALU_DEP_1)
	v_mul_f64 v[11:12], v[9:10], v[7:8]
	v_fma_f64 v[5:6], -v[5:6], v[11:12], v[9:10]
	s_waitcnt vmcnt(0)
	v_cmp_eq_u64_e64 s6, s[2:3], v[2:3]
                                        ; implicit-def: $sgpr3
	s_delay_alu instid0(VALU_DEP_2) | instskip(NEXT) | instid1(VALU_DEP_1)
	v_div_fmas_f64 v[5:6], v[5:6], v[7:8], v[11:12]
	v_div_fixup_f64 v[0:1], v[5:6], s[0:1], v[0:1]
                                        ; implicit-def: $sgpr1
	s_delay_alu instid0(VALU_DEP_1)
	v_cmp_eq_f64_e32 vcc_lo, 0, v[0:1]
	s_set_inst_prefetch_distance 0x1
	s_branch .LBB59_68
	.p2align	6
.LBB59_67:                              ;   in Loop: Header=BB59_68 Depth=1
	s_or_b32 exec_lo, exec_lo, s7
	s_delay_alu instid0(SALU_CYCLE_1) | instskip(NEXT) | instid1(SALU_CYCLE_1)
	s_and_b32 s0, exec_lo, s1
	s_or_b32 s2, s0, s2
	s_and_not1_b32 s0, s6, exec_lo
	s_and_b32 s6, s3, exec_lo
	s_delay_alu instid0(SALU_CYCLE_1)
	s_or_b32 s6, s0, s6
	s_and_not1_b32 exec_lo, exec_lo, s2
	s_cbranch_execz .LBB59_70
.LBB59_68:                              ; =>This Inner Loop Header: Depth=1
	v_cmp_lt_f64_e64 s0, v[2:3], v[0:1]
	s_and_b32 s7, vcc_lo, s6
	s_and_not1_b32 s3, s3, exec_lo
	s_or_b32 s1, s1, exec_lo
	s_delay_alu instid0(VALU_DEP_1) | instskip(NEXT) | instid1(SALU_CYCLE_1)
	s_or_b32 s0, s0, s7
	s_and_saveexec_b32 s7, s0
	s_cbranch_execz .LBB59_67
; %bb.69:                               ;   in Loop: Header=BB59_68 Depth=1
	global_atomic_cmpswap_b64 v[5:6], v4, v[0:3], s[4:5] glc
	s_and_not1_b32 s3, s3, exec_lo
	s_and_not1_b32 s1, s1, exec_lo
	s_waitcnt vmcnt(0)
	v_cmp_eq_u64_e64 s0, v[5:6], v[2:3]
	s_delay_alu instid0(VALU_DEP_1) | instskip(SKIP_2) | instid1(SALU_CYCLE_1)
	v_cndmask_b32_e64 v3, v6, v3, s0
	v_cndmask_b32_e64 v2, v5, v2, s0
	s_and_b32 s0, s0, exec_lo
	s_or_b32 s1, s1, s0
	s_delay_alu instid0(VALU_DEP_1) | instskip(SKIP_1) | instid1(VALU_DEP_2)
	v_cmp_class_f64_e64 s6, v[2:3], 32
	v_dual_mov_b32 v2, v5 :: v_dual_mov_b32 v3, v6
	s_and_b32 s6, s6, exec_lo
	s_delay_alu instid0(SALU_CYCLE_1)
	s_or_b32 s3, s3, s6
                                        ; implicit-def: $sgpr6
	s_branch .LBB59_67
.LBB59_70:
	s_set_inst_prefetch_distance 0x2
	s_endpgm
	.section	.rodata,"a",@progbits
	.p2align	6, 0x0
	.amdhsa_kernel _ZN9rocsparseL16kernel_calculateILi1024ELi8ELb1E21rocsparse_complex_numIdEiiEEvT4_T3_PKS4_S6_PKS3_PKT2_21rocsparse_index_base_S6_S6_S8_S6_S6_S8_S6_PS9_PNS_15floating_traitsIS9_E6data_tEPKSG_
		.amdhsa_group_segment_fixed_size 1024
		.amdhsa_private_segment_fixed_size 0
		.amdhsa_kernarg_size 128
		.amdhsa_user_sgpr_count 15
		.amdhsa_user_sgpr_dispatch_ptr 0
		.amdhsa_user_sgpr_queue_ptr 0
		.amdhsa_user_sgpr_kernarg_segment_ptr 1
		.amdhsa_user_sgpr_dispatch_id 0
		.amdhsa_user_sgpr_private_segment_size 0
		.amdhsa_wavefront_size32 1
		.amdhsa_uses_dynamic_stack 0
		.amdhsa_enable_private_segment 0
		.amdhsa_system_sgpr_workgroup_id_x 1
		.amdhsa_system_sgpr_workgroup_id_y 0
		.amdhsa_system_sgpr_workgroup_id_z 0
		.amdhsa_system_sgpr_workgroup_info 0
		.amdhsa_system_vgpr_workitem_id 0
		.amdhsa_next_free_vgpr 47
		.amdhsa_next_free_sgpr 42
		.amdhsa_reserve_vcc 1
		.amdhsa_float_round_mode_32 0
		.amdhsa_float_round_mode_16_64 0
		.amdhsa_float_denorm_mode_32 3
		.amdhsa_float_denorm_mode_16_64 3
		.amdhsa_dx10_clamp 1
		.amdhsa_ieee_mode 1
		.amdhsa_fp16_overflow 0
		.amdhsa_workgroup_processor_mode 1
		.amdhsa_memory_ordered 1
		.amdhsa_forward_progress 0
		.amdhsa_shared_vgpr_count 0
		.amdhsa_exception_fp_ieee_invalid_op 0
		.amdhsa_exception_fp_denorm_src 0
		.amdhsa_exception_fp_ieee_div_zero 0
		.amdhsa_exception_fp_ieee_overflow 0
		.amdhsa_exception_fp_ieee_underflow 0
		.amdhsa_exception_fp_ieee_inexact 0
		.amdhsa_exception_int_div_zero 0
	.end_amdhsa_kernel
	.section	.text._ZN9rocsparseL16kernel_calculateILi1024ELi8ELb1E21rocsparse_complex_numIdEiiEEvT4_T3_PKS4_S6_PKS3_PKT2_21rocsparse_index_base_S6_S6_S8_S6_S6_S8_S6_PS9_PNS_15floating_traitsIS9_E6data_tEPKSG_,"axG",@progbits,_ZN9rocsparseL16kernel_calculateILi1024ELi8ELb1E21rocsparse_complex_numIdEiiEEvT4_T3_PKS4_S6_PKS3_PKT2_21rocsparse_index_base_S6_S6_S8_S6_S6_S8_S6_PS9_PNS_15floating_traitsIS9_E6data_tEPKSG_,comdat
.Lfunc_end59:
	.size	_ZN9rocsparseL16kernel_calculateILi1024ELi8ELb1E21rocsparse_complex_numIdEiiEEvT4_T3_PKS4_S6_PKS3_PKT2_21rocsparse_index_base_S6_S6_S8_S6_S6_S8_S6_PS9_PNS_15floating_traitsIS9_E6data_tEPKSG_, .Lfunc_end59-_ZN9rocsparseL16kernel_calculateILi1024ELi8ELb1E21rocsparse_complex_numIdEiiEEvT4_T3_PKS4_S6_PKS3_PKT2_21rocsparse_index_base_S6_S6_S8_S6_S6_S8_S6_PS9_PNS_15floating_traitsIS9_E6data_tEPKSG_
                                        ; -- End function
	.section	.AMDGPU.csdata,"",@progbits
; Kernel info:
; codeLenInByte = 4596
; NumSgprs: 44
; NumVgprs: 47
; ScratchSize: 0
; MemoryBound: 1
; FloatMode: 240
; IeeeMode: 1
; LDSByteSize: 1024 bytes/workgroup (compile time only)
; SGPRBlocks: 5
; VGPRBlocks: 5
; NumSGPRsForWavesPerEU: 44
; NumVGPRsForWavesPerEU: 47
; Occupancy: 16
; WaveLimiterHint : 1
; COMPUTE_PGM_RSRC2:SCRATCH_EN: 0
; COMPUTE_PGM_RSRC2:USER_SGPR: 15
; COMPUTE_PGM_RSRC2:TRAP_HANDLER: 0
; COMPUTE_PGM_RSRC2:TGID_X_EN: 1
; COMPUTE_PGM_RSRC2:TGID_Y_EN: 0
; COMPUTE_PGM_RSRC2:TGID_Z_EN: 0
; COMPUTE_PGM_RSRC2:TIDIG_COMP_CNT: 0
	.section	.text._ZN9rocsparseL16kernel_calculateILi1024ELi16ELb1E21rocsparse_complex_numIdEiiEEvT4_T3_PKS4_S6_PKS3_PKT2_21rocsparse_index_base_S6_S6_S8_S6_S6_S8_S6_PS9_PNS_15floating_traitsIS9_E6data_tEPKSG_,"axG",@progbits,_ZN9rocsparseL16kernel_calculateILi1024ELi16ELb1E21rocsparse_complex_numIdEiiEEvT4_T3_PKS4_S6_PKS3_PKT2_21rocsparse_index_base_S6_S6_S8_S6_S6_S8_S6_PS9_PNS_15floating_traitsIS9_E6data_tEPKSG_,comdat
	.globl	_ZN9rocsparseL16kernel_calculateILi1024ELi16ELb1E21rocsparse_complex_numIdEiiEEvT4_T3_PKS4_S6_PKS3_PKT2_21rocsparse_index_base_S6_S6_S8_S6_S6_S8_S6_PS9_PNS_15floating_traitsIS9_E6data_tEPKSG_ ; -- Begin function _ZN9rocsparseL16kernel_calculateILi1024ELi16ELb1E21rocsparse_complex_numIdEiiEEvT4_T3_PKS4_S6_PKS3_PKT2_21rocsparse_index_base_S6_S6_S8_S6_S6_S8_S6_PS9_PNS_15floating_traitsIS9_E6data_tEPKSG_
	.p2align	8
	.type	_ZN9rocsparseL16kernel_calculateILi1024ELi16ELb1E21rocsparse_complex_numIdEiiEEvT4_T3_PKS4_S6_PKS3_PKT2_21rocsparse_index_base_S6_S6_S8_S6_S6_S8_S6_PS9_PNS_15floating_traitsIS9_E6data_tEPKSG_,@function
_ZN9rocsparseL16kernel_calculateILi1024ELi16ELb1E21rocsparse_complex_numIdEiiEEvT4_T3_PKS4_S6_PKS3_PKT2_21rocsparse_index_base_S6_S6_S8_S6_S6_S8_S6_PS9_PNS_15floating_traitsIS9_E6data_tEPKSG_: ; @_ZN9rocsparseL16kernel_calculateILi1024ELi16ELb1E21rocsparse_complex_numIdEiiEEvT4_T3_PKS4_S6_PKS3_PKT2_21rocsparse_index_base_S6_S6_S8_S6_S6_S8_S6_PS9_PNS_15floating_traitsIS9_E6data_tEPKSG_
; %bb.0:
	s_load_b32 s28, s[0:1], 0x0
	v_lshrrev_b32_e32 v28, 4, v0
	v_mov_b32_e32 v13, 0
	v_dual_mov_b32 v14, 0 :: v_dual_and_b32 v29, 15, v0
	s_mov_b32 s29, exec_lo
	s_delay_alu instid0(VALU_DEP_3) | instskip(SKIP_1) | instid1(VALU_DEP_1)
	v_lshl_or_b32 v30, s15, 10, v28
	s_waitcnt lgkmcnt(0)
	v_cmpx_gt_i32_e64 s28, v30
	s_cbranch_execz .LBB60_49
; %bb.1:
	s_clause 0x3
	s_load_b32 s30, s[0:1], 0x28
	s_load_b256 s[4:11], s[0:1], 0x50
	s_load_b256 s[12:19], s[0:1], 0x30
	;; [unrolled: 1-line block ×3, first 2 shown]
	v_mov_b32_e32 v13, 0
	v_mov_b32_e32 v14, 0
	s_mov_b32 s31, 0
	s_waitcnt lgkmcnt(0)
	v_subrev_nc_u32_e32 v31, s30, v29
	s_branch .LBB60_5
.LBB60_2:                               ;   in Loop: Header=BB60_5 Depth=1
	s_or_b32 exec_lo, exec_lo, s35
.LBB60_3:                               ;   in Loop: Header=BB60_5 Depth=1
	s_delay_alu instid0(SALU_CYCLE_1)
	s_or_b32 exec_lo, exec_lo, s34
.LBB60_4:                               ;   in Loop: Header=BB60_5 Depth=1
	s_delay_alu instid0(SALU_CYCLE_1) | instskip(SKIP_1) | instid1(SALU_CYCLE_1)
	s_or_b32 exec_lo, exec_lo, s33
	s_add_i32 s31, s31, 1
	s_cmp_lg_u32 s31, 16
	s_cbranch_scc0 .LBB60_49
.LBB60_5:                               ; =>This Loop Header: Depth=1
                                        ;     Child Loop BB60_9 Depth 2
                                        ;       Child Loop BB60_12 Depth 3
                                        ;       Child Loop BB60_32 Depth 3
	;; [unrolled: 1-line block ×3, first 2 shown]
	v_lshl_add_u32 v15, s31, 6, v30
	s_mov_b32 s33, exec_lo
	s_delay_alu instid0(VALU_DEP_1)
	v_cmpx_gt_i32_e64 s28, v15
	s_cbranch_execz .LBB60_4
; %bb.6:                                ;   in Loop: Header=BB60_5 Depth=1
	v_ashrrev_i32_e32 v16, 31, v15
	s_mov_b32 s34, exec_lo
	s_delay_alu instid0(VALU_DEP_1) | instskip(NEXT) | instid1(VALU_DEP_1)
	v_lshlrev_b64 v[1:2], 2, v[15:16]
	v_add_co_u32 v3, vcc_lo, s22, v1
	s_delay_alu instid0(VALU_DEP_2)
	v_add_co_ci_u32_e32 v4, vcc_lo, s23, v2, vcc_lo
	v_add_co_u32 v5, vcc_lo, s20, v1
	v_add_co_ci_u32_e32 v6, vcc_lo, s21, v2, vcc_lo
	global_load_b32 v3, v[3:4], off
	global_load_b32 v4, v[5:6], off
	s_waitcnt vmcnt(1)
	v_subrev_nc_u32_e32 v32, s30, v3
	s_waitcnt vmcnt(0)
	v_add_nc_u32_e32 v16, v31, v4
	s_delay_alu instid0(VALU_DEP_1)
	v_cmpx_lt_i32_e64 v16, v32
	s_cbranch_execz .LBB60_3
; %bb.7:                                ;   in Loop: Header=BB60_5 Depth=1
	v_add_co_u32 v3, vcc_lo, s14, v1
	v_add_co_ci_u32_e32 v4, vcc_lo, s15, v2, vcc_lo
	v_add_co_u32 v1, vcc_lo, s12, v1
	v_add_co_ci_u32_e32 v2, vcc_lo, s13, v2, vcc_lo
	s_mov_b32 s35, 0
	global_load_b32 v3, v[3:4], off
	global_load_b32 v1, v[1:2], off
	s_waitcnt vmcnt(1)
	v_subrev_nc_u32_e32 v33, s30, v3
	s_waitcnt vmcnt(0)
	v_subrev_nc_u32_e32 v34, s30, v1
	v_cmp_lt_i32_e64 s2, v1, v3
	s_branch .LBB60_9
.LBB60_8:                               ;   in Loop: Header=BB60_9 Depth=2
	s_or_b32 exec_lo, exec_lo, s3
	v_cmp_nlg_f64_e64 s36, 0x7ff00000, |v[5:6]|
	v_cmp_gt_f64_e32 vcc_lo, v[13:14], v[5:6]
	s_delay_alu instid0(VALU_DEP_2) | instskip(SKIP_2) | instid1(VALU_DEP_2)
	s_or_b32 vcc_lo, s36, vcc_lo
	v_dual_cndmask_b32 v13, v5, v13 :: v_dual_add_nc_u32 v16, 16, v16
	v_cndmask_b32_e32 v14, v6, v14, vcc_lo
	v_cmp_ge_i32_e64 s3, v16, v32
	s_delay_alu instid0(VALU_DEP_1) | instskip(NEXT) | instid1(SALU_CYCLE_1)
	s_or_b32 s35, s3, s35
	s_and_not1_b32 exec_lo, exec_lo, s35
	s_cbranch_execz .LBB60_2
.LBB60_9:                               ;   Parent Loop BB60_5 Depth=1
                                        ; =>  This Loop Header: Depth=2
                                        ;       Child Loop BB60_12 Depth 3
                                        ;       Child Loop BB60_32 Depth 3
	;; [unrolled: 1-line block ×3, first 2 shown]
	v_ashrrev_i32_e32 v17, 31, v16
	v_mov_b32_e32 v22, 0
	v_mov_b32_e32 v23, 0
	s_delay_alu instid0(VALU_DEP_3) | instskip(SKIP_1) | instid1(VALU_DEP_2)
	v_lshlrev_b64 v[1:2], 2, v[16:17]
	v_lshlrev_b64 v[17:18], 4, v[16:17]
	v_add_co_u32 v1, vcc_lo, s24, v1
	s_delay_alu instid0(VALU_DEP_3) | instskip(SKIP_3) | instid1(VALU_DEP_1)
	v_add_co_ci_u32_e32 v2, vcc_lo, s25, v2, vcc_lo
	global_load_b32 v35, v[1:2], off
	s_waitcnt vmcnt(0)
	v_subrev_nc_u32_e32 v19, s30, v35
	v_ashrrev_i32_e32 v20, 31, v19
	s_delay_alu instid0(VALU_DEP_1) | instskip(NEXT) | instid1(VALU_DEP_1)
	v_lshlrev_b64 v[1:2], 2, v[19:20]
	v_add_co_u32 v3, vcc_lo, s14, v1
	s_delay_alu instid0(VALU_DEP_2)
	v_add_co_ci_u32_e32 v4, vcc_lo, s15, v2, vcc_lo
	v_add_co_u32 v5, vcc_lo, s4, v1
	v_add_co_ci_u32_e32 v6, vcc_lo, s5, v2, vcc_lo
	global_load_b32 v3, v[3:4], off
	v_add_co_u32 v1, vcc_lo, s18, v1
	v_add_co_ci_u32_e32 v2, vcc_lo, s19, v2, vcc_lo
	v_add_co_u32 v7, vcc_lo, s26, v17
	v_add_co_ci_u32_e32 v8, vcc_lo, s27, v18, vcc_lo
	global_load_b32 v20, v[5:6], off
	global_load_b32 v21, v[1:2], off
	s_waitcnt vmcnt(2)
	v_subrev_nc_u32_e32 v3, s30, v3
	s_delay_alu instid0(VALU_DEP_1)
	v_ashrrev_i32_e32 v4, 31, v3
	s_waitcnt vmcnt(1)
	v_subrev_nc_u32_e32 v36, s30, v20
	s_waitcnt vmcnt(0)
	v_subrev_nc_u32_e32 v24, s30, v21
	v_lshlrev_b64 v[3:4], 4, v[3:4]
	s_delay_alu instid0(VALU_DEP_1) | instskip(NEXT) | instid1(VALU_DEP_2)
	v_add_co_u32 v1, vcc_lo, s10, v3
	v_add_co_ci_u32_e32 v2, vcc_lo, s11, v4, vcc_lo
	v_cmp_lt_i32_e32 vcc_lo, v21, v20
	v_mov_b32_e32 v20, v34
	global_load_b128 v[9:12], v[7:8], off
	global_load_b128 v[5:8], v[1:2], off
	v_dual_mov_b32 v27, v23 :: v_dual_mov_b32 v26, v22
	s_and_b32 s3, s2, vcc_lo
	s_delay_alu instid0(SALU_CYCLE_1)
	s_and_saveexec_b32 s36, s3
	s_cbranch_execz .LBB60_15
; %bb.10:                               ;   in Loop: Header=BB60_9 Depth=2
	v_mov_b32_e32 v22, 0
	v_dual_mov_b32 v23, 0 :: v_dual_mov_b32 v20, v34
	s_mov_b32 s37, 0
	s_delay_alu instid0(VALU_DEP_1)
	v_dual_mov_b32 v27, v23 :: v_dual_mov_b32 v26, v22
	s_branch .LBB60_12
.LBB60_11:                              ;   in Loop: Header=BB60_12 Depth=3
	s_or_b32 exec_lo, exec_lo, s3
	v_cmp_le_i32_e32 vcc_lo, v3, v4
	v_add_co_ci_u32_e32 v20, vcc_lo, 0, v20, vcc_lo
	v_cmp_ge_i32_e32 vcc_lo, v3, v4
	v_add_co_ci_u32_e32 v24, vcc_lo, 0, v24, vcc_lo
	s_delay_alu instid0(VALU_DEP_3) | instskip(NEXT) | instid1(VALU_DEP_2)
	v_cmp_ge_i32_e32 vcc_lo, v20, v33
	v_cmp_ge_i32_e64 s3, v24, v36
	s_delay_alu instid0(VALU_DEP_1) | instskip(NEXT) | instid1(SALU_CYCLE_1)
	s_or_b32 s3, vcc_lo, s3
	s_and_b32 s3, exec_lo, s3
	s_delay_alu instid0(SALU_CYCLE_1) | instskip(NEXT) | instid1(SALU_CYCLE_1)
	s_or_b32 s37, s3, s37
	s_and_not1_b32 exec_lo, exec_lo, s37
	s_cbranch_execz .LBB60_14
.LBB60_12:                              ;   Parent Loop BB60_5 Depth=1
                                        ;     Parent Loop BB60_9 Depth=2
                                        ; =>    This Inner Loop Header: Depth=3
	s_delay_alu instid0(VALU_DEP_2) | instskip(SKIP_2) | instid1(VALU_DEP_2)
	v_ashrrev_i32_e32 v21, 31, v20
	v_ashrrev_i32_e32 v25, 31, v24
	s_mov_b32 s3, exec_lo
	v_lshlrev_b64 v[3:4], 2, v[20:21]
	s_delay_alu instid0(VALU_DEP_2) | instskip(NEXT) | instid1(VALU_DEP_2)
	v_lshlrev_b64 v[1:2], 2, v[24:25]
	v_add_co_u32 v3, vcc_lo, s16, v3
	s_delay_alu instid0(VALU_DEP_3) | instskip(NEXT) | instid1(VALU_DEP_3)
	v_add_co_ci_u32_e32 v4, vcc_lo, s17, v4, vcc_lo
	v_add_co_u32 v37, vcc_lo, s6, v1
	s_delay_alu instid0(VALU_DEP_4)
	v_add_co_ci_u32_e32 v38, vcc_lo, s7, v2, vcc_lo
	global_load_b32 v3, v[3:4], off
	global_load_b32 v4, v[37:38], off
	s_waitcnt vmcnt(0)
	v_cmpx_eq_u32_e64 v3, v4
	s_cbranch_execz .LBB60_11
; %bb.13:                               ;   in Loop: Header=BB60_12 Depth=3
	v_add_co_u32 v1, vcc_lo, s8, v1
	v_add_co_ci_u32_e32 v2, vcc_lo, s9, v2, vcc_lo
	v_lshlrev_b64 v[37:38], 4, v[20:21]
	global_load_b32 v1, v[1:2], off
	v_add_co_u32 v37, vcc_lo, s10, v37
	v_add_co_ci_u32_e32 v38, vcc_lo, s11, v38, vcc_lo
	s_waitcnt vmcnt(0)
	v_ashrrev_i32_e32 v2, 31, v1
	s_delay_alu instid0(VALU_DEP_1) | instskip(NEXT) | instid1(VALU_DEP_1)
	v_lshlrev_b64 v[1:2], 4, v[1:2]
	v_add_co_u32 v1, vcc_lo, s10, v1
	s_delay_alu instid0(VALU_DEP_2)
	v_add_co_ci_u32_e32 v2, vcc_lo, s11, v2, vcc_lo
	s_clause 0x1
	global_load_b128 v[37:40], v[37:38], off
	global_load_b128 v[41:44], v[1:2], off
	s_waitcnt vmcnt(0)
	v_fma_f64 v[1:2], v[37:38], v[41:42], v[22:23]
	v_fma_f64 v[25:26], v[39:40], v[41:42], v[26:27]
	s_delay_alu instid0(VALU_DEP_2) | instskip(NEXT) | instid1(VALU_DEP_2)
	v_fma_f64 v[22:23], -v[39:40], v[43:44], v[1:2]
	v_fma_f64 v[26:27], v[37:38], v[43:44], v[25:26]
	s_branch .LBB60_11
.LBB60_14:                              ;   in Loop: Header=BB60_9 Depth=2
	s_or_b32 exec_lo, exec_lo, s37
.LBB60_15:                              ;   in Loop: Header=BB60_9 Depth=2
	s_delay_alu instid0(SALU_CYCLE_1)
	s_or_b32 exec_lo, exec_lo, s36
	s_waitcnt vmcnt(1)
	v_add_f64 v[1:2], v[9:10], -v[22:23]
	v_add_f64 v[3:4], v[11:12], -v[26:27]
	s_mov_b32 s3, exec_lo
	v_cmpx_gt_i32_e64 v15, v19
	s_cbranch_execz .LBB60_17
; %bb.16:                               ;   in Loop: Header=BB60_9 Depth=2
	s_waitcnt vmcnt(0)
	v_mul_f64 v[37:38], v[7:8], v[7:8]
	s_delay_alu instid0(VALU_DEP_1) | instskip(NEXT) | instid1(VALU_DEP_1)
	v_fma_f64 v[37:38], v[5:6], v[5:6], v[37:38]
	v_div_scale_f64 v[39:40], null, v[37:38], v[37:38], 1.0
	v_div_scale_f64 v[45:46], vcc_lo, 1.0, v[37:38], 1.0
	s_delay_alu instid0(VALU_DEP_2) | instskip(SKIP_2) | instid1(VALU_DEP_1)
	v_rcp_f64_e32 v[41:42], v[39:40]
	s_waitcnt_depctr 0xfff
	v_fma_f64 v[43:44], -v[39:40], v[41:42], 1.0
	v_fma_f64 v[41:42], v[41:42], v[43:44], v[41:42]
	s_delay_alu instid0(VALU_DEP_1) | instskip(NEXT) | instid1(VALU_DEP_1)
	v_fma_f64 v[43:44], -v[39:40], v[41:42], 1.0
	v_fma_f64 v[41:42], v[41:42], v[43:44], v[41:42]
	s_delay_alu instid0(VALU_DEP_1) | instskip(NEXT) | instid1(VALU_DEP_1)
	v_mul_f64 v[43:44], v[45:46], v[41:42]
	v_fma_f64 v[39:40], -v[39:40], v[43:44], v[45:46]
	s_delay_alu instid0(VALU_DEP_1) | instskip(SKIP_2) | instid1(VALU_DEP_3)
	v_div_fmas_f64 v[39:40], v[39:40], v[41:42], v[43:44]
	v_mul_f64 v[41:42], v[7:8], v[3:4]
	v_mul_f64 v[43:44], v[7:8], -v[1:2]
	v_div_fixup_f64 v[37:38], v[39:40], v[37:38], 1.0
	s_delay_alu instid0(VALU_DEP_3) | instskip(NEXT) | instid1(VALU_DEP_3)
	v_fma_f64 v[1:2], v[1:2], v[5:6], v[41:42]
	v_fma_f64 v[3:4], v[3:4], v[5:6], v[43:44]
	s_delay_alu instid0(VALU_DEP_2) | instskip(NEXT) | instid1(VALU_DEP_2)
	v_mul_f64 v[1:2], v[37:38], v[1:2]
	v_mul_f64 v[3:4], v[37:38], v[3:4]
.LBB60_17:                              ;   in Loop: Header=BB60_9 Depth=2
	s_or_b32 exec_lo, exec_lo, s3
	v_add_f64 v[22:23], v[22:23], -v[9:10]
	v_add_f64 v[9:10], v[26:27], -v[11:12]
	s_mov_b32 s36, exec_lo
	v_cmpx_lt_i32_e64 v24, v36
	s_cbranch_execnz .LBB60_30
; %bb.18:                               ;   in Loop: Header=BB60_9 Depth=2
	s_or_b32 exec_lo, exec_lo, s36
	s_delay_alu instid0(SALU_CYCLE_1)
	s_mov_b32 s36, exec_lo
	v_cmpx_lt_i32_e64 v20, v33
	s_cbranch_execnz .LBB60_42
.LBB60_19:                              ;   in Loop: Header=BB60_9 Depth=2
	s_or_b32 exec_lo, exec_lo, s36
	s_delay_alu instid0(SALU_CYCLE_1)
	s_mov_b32 s3, exec_lo
	v_cmpx_eq_u32_e64 v15, v19
	s_cbranch_execz .LBB60_21
.LBB60_20:                              ;   in Loop: Header=BB60_9 Depth=2
	s_waitcnt vmcnt(0)
	s_delay_alu instid0(VALU_DEP_3) | instskip(NEXT) | instid1(VALU_DEP_3)
	v_add_f64 v[22:23], v[5:6], v[22:23]
	v_add_f64 v[9:10], v[7:8], v[9:10]
.LBB60_21:                              ;   in Loop: Header=BB60_9 Depth=2
	s_or_b32 exec_lo, exec_lo, s3
	s_delay_alu instid0(VALU_DEP_2) | instskip(NEXT) | instid1(VALU_DEP_2)
	v_cmp_gt_f64_e32 vcc_lo, 0, v[22:23]
	v_cmp_gt_f64_e64 s3, 0, v[9:10]
	s_waitcnt vmcnt(0)
	v_xor_b32_e32 v5, 0x80000000, v23
	v_xor_b32_e32 v6, 0x80000000, v10
	s_delay_alu instid0(VALU_DEP_2) | instskip(NEXT) | instid1(VALU_DEP_2)
	v_dual_cndmask_b32 v8, v23, v5 :: v_dual_cndmask_b32 v7, v22, v22
	v_cndmask_b32_e64 v12, v10, v6, s3
	v_cndmask_b32_e64 v11, v9, v9, s3
	s_mov_b32 s3, exec_lo
                                        ; implicit-def: $vgpr5_vgpr6
	s_delay_alu instid0(VALU_DEP_1)
	v_cmpx_ngt_f64_e32 v[7:8], v[11:12]
	s_xor_b32 s3, exec_lo, s3
	s_cbranch_execz .LBB60_25
; %bb.22:                               ;   in Loop: Header=BB60_9 Depth=2
	v_mov_b32_e32 v5, 0
	v_mov_b32_e32 v6, 0
	s_mov_b32 s36, exec_lo
	v_cmpx_neq_f64_e32 0, v[9:10]
	s_cbranch_execz .LBB60_24
; %bb.23:                               ;   in Loop: Header=BB60_9 Depth=2
	v_div_scale_f64 v[5:6], null, v[11:12], v[11:12], v[7:8]
	v_div_scale_f64 v[21:22], vcc_lo, v[7:8], v[11:12], v[7:8]
	s_delay_alu instid0(VALU_DEP_2) | instskip(SKIP_2) | instid1(VALU_DEP_1)
	v_rcp_f64_e32 v[9:10], v[5:6]
	s_waitcnt_depctr 0xfff
	v_fma_f64 v[19:20], -v[5:6], v[9:10], 1.0
	v_fma_f64 v[9:10], v[9:10], v[19:20], v[9:10]
	s_delay_alu instid0(VALU_DEP_1) | instskip(NEXT) | instid1(VALU_DEP_1)
	v_fma_f64 v[19:20], -v[5:6], v[9:10], 1.0
	v_fma_f64 v[9:10], v[9:10], v[19:20], v[9:10]
	s_delay_alu instid0(VALU_DEP_1) | instskip(NEXT) | instid1(VALU_DEP_1)
	v_mul_f64 v[19:20], v[21:22], v[9:10]
	v_fma_f64 v[5:6], -v[5:6], v[19:20], v[21:22]
	s_delay_alu instid0(VALU_DEP_1) | instskip(NEXT) | instid1(VALU_DEP_1)
	v_div_fmas_f64 v[5:6], v[5:6], v[9:10], v[19:20]
	v_div_fixup_f64 v[5:6], v[5:6], v[11:12], v[7:8]
	s_delay_alu instid0(VALU_DEP_1) | instskip(NEXT) | instid1(VALU_DEP_1)
	v_fma_f64 v[5:6], v[5:6], v[5:6], 1.0
	v_cmp_gt_f64_e32 vcc_lo, 0x10000000, v[5:6]
	v_cndmask_b32_e64 v7, 0, 1, vcc_lo
	s_delay_alu instid0(VALU_DEP_1) | instskip(NEXT) | instid1(VALU_DEP_1)
	v_lshlrev_b32_e32 v7, 8, v7
	v_ldexp_f64 v[5:6], v[5:6], v7
	s_delay_alu instid0(VALU_DEP_1) | instskip(SKIP_3) | instid1(VALU_DEP_1)
	v_rsq_f64_e32 v[7:8], v[5:6]
	s_waitcnt_depctr 0xfff
	v_mul_f64 v[9:10], v[5:6], v[7:8]
	v_mul_f64 v[7:8], v[7:8], 0.5
	v_fma_f64 v[19:20], -v[7:8], v[9:10], 0.5
	s_delay_alu instid0(VALU_DEP_1) | instskip(SKIP_1) | instid1(VALU_DEP_2)
	v_fma_f64 v[9:10], v[9:10], v[19:20], v[9:10]
	v_fma_f64 v[7:8], v[7:8], v[19:20], v[7:8]
	v_fma_f64 v[19:20], -v[9:10], v[9:10], v[5:6]
	s_delay_alu instid0(VALU_DEP_1) | instskip(NEXT) | instid1(VALU_DEP_1)
	v_fma_f64 v[9:10], v[19:20], v[7:8], v[9:10]
	v_fma_f64 v[19:20], -v[9:10], v[9:10], v[5:6]
	s_delay_alu instid0(VALU_DEP_1) | instskip(SKIP_2) | instid1(VALU_DEP_2)
	v_fma_f64 v[7:8], v[19:20], v[7:8], v[9:10]
	v_cndmask_b32_e64 v9, 0, 0xffffff80, vcc_lo
	v_cmp_class_f64_e64 vcc_lo, v[5:6], 0x260
	v_ldexp_f64 v[7:8], v[7:8], v9
	s_delay_alu instid0(VALU_DEP_1) | instskip(NEXT) | instid1(VALU_DEP_1)
	v_dual_cndmask_b32 v6, v8, v6 :: v_dual_cndmask_b32 v5, v7, v5
	v_mul_f64 v[5:6], v[11:12], v[5:6]
.LBB60_24:                              ;   in Loop: Header=BB60_9 Depth=2
	s_or_b32 exec_lo, exec_lo, s36
                                        ; implicit-def: $vgpr7_vgpr8
                                        ; implicit-def: $vgpr11_vgpr12
.LBB60_25:                              ;   in Loop: Header=BB60_9 Depth=2
	s_and_not1_saveexec_b32 s3, s3
	s_cbranch_execz .LBB60_27
; %bb.26:                               ;   in Loop: Header=BB60_9 Depth=2
	v_div_scale_f64 v[5:6], null, v[7:8], v[7:8], v[11:12]
	v_div_scale_f64 v[21:22], vcc_lo, v[11:12], v[7:8], v[11:12]
	s_delay_alu instid0(VALU_DEP_2) | instskip(SKIP_2) | instid1(VALU_DEP_1)
	v_rcp_f64_e32 v[9:10], v[5:6]
	s_waitcnt_depctr 0xfff
	v_fma_f64 v[19:20], -v[5:6], v[9:10], 1.0
	v_fma_f64 v[9:10], v[9:10], v[19:20], v[9:10]
	s_delay_alu instid0(VALU_DEP_1) | instskip(NEXT) | instid1(VALU_DEP_1)
	v_fma_f64 v[19:20], -v[5:6], v[9:10], 1.0
	v_fma_f64 v[9:10], v[9:10], v[19:20], v[9:10]
	s_delay_alu instid0(VALU_DEP_1) | instskip(NEXT) | instid1(VALU_DEP_1)
	v_mul_f64 v[19:20], v[21:22], v[9:10]
	v_fma_f64 v[5:6], -v[5:6], v[19:20], v[21:22]
	s_delay_alu instid0(VALU_DEP_1) | instskip(NEXT) | instid1(VALU_DEP_1)
	v_div_fmas_f64 v[5:6], v[5:6], v[9:10], v[19:20]
	v_div_fixup_f64 v[5:6], v[5:6], v[7:8], v[11:12]
	s_delay_alu instid0(VALU_DEP_1) | instskip(NEXT) | instid1(VALU_DEP_1)
	v_fma_f64 v[5:6], v[5:6], v[5:6], 1.0
	v_cmp_gt_f64_e32 vcc_lo, 0x10000000, v[5:6]
	v_cndmask_b32_e64 v9, 0, 1, vcc_lo
	s_delay_alu instid0(VALU_DEP_1) | instskip(NEXT) | instid1(VALU_DEP_1)
	v_lshlrev_b32_e32 v9, 8, v9
	v_ldexp_f64 v[5:6], v[5:6], v9
	s_delay_alu instid0(VALU_DEP_1) | instskip(SKIP_3) | instid1(VALU_DEP_1)
	v_rsq_f64_e32 v[9:10], v[5:6]
	s_waitcnt_depctr 0xfff
	v_mul_f64 v[11:12], v[5:6], v[9:10]
	v_mul_f64 v[9:10], v[9:10], 0.5
	v_fma_f64 v[19:20], -v[9:10], v[11:12], 0.5
	s_delay_alu instid0(VALU_DEP_1) | instskip(SKIP_1) | instid1(VALU_DEP_2)
	v_fma_f64 v[11:12], v[11:12], v[19:20], v[11:12]
	v_fma_f64 v[9:10], v[9:10], v[19:20], v[9:10]
	v_fma_f64 v[19:20], -v[11:12], v[11:12], v[5:6]
	s_delay_alu instid0(VALU_DEP_1) | instskip(NEXT) | instid1(VALU_DEP_1)
	v_fma_f64 v[11:12], v[19:20], v[9:10], v[11:12]
	v_fma_f64 v[19:20], -v[11:12], v[11:12], v[5:6]
	s_delay_alu instid0(VALU_DEP_1) | instskip(SKIP_2) | instid1(VALU_DEP_2)
	v_fma_f64 v[9:10], v[19:20], v[9:10], v[11:12]
	v_cndmask_b32_e64 v11, 0, 0xffffff80, vcc_lo
	v_cmp_class_f64_e64 vcc_lo, v[5:6], 0x260
	v_ldexp_f64 v[9:10], v[9:10], v11
	s_delay_alu instid0(VALU_DEP_1) | instskip(NEXT) | instid1(VALU_DEP_1)
	v_dual_cndmask_b32 v6, v10, v6 :: v_dual_cndmask_b32 v5, v9, v5
	v_mul_f64 v[5:6], v[7:8], v[5:6]
.LBB60_27:                              ;   in Loop: Header=BB60_9 Depth=2
	s_or_b32 exec_lo, exec_lo, s3
	v_cmp_gt_f64_e32 vcc_lo, 0, v[1:2]
	v_cmp_gt_f64_e64 s3, 0, v[3:4]
	v_xor_b32_e32 v7, 0x80000000, v2
	v_xor_b32_e32 v9, 0x80000000, v4
                                        ; implicit-def: $vgpr11_vgpr12
	s_delay_alu instid0(VALU_DEP_2) | instskip(NEXT) | instid1(VALU_DEP_2)
	v_dual_cndmask_b32 v8, v2, v7 :: v_dual_cndmask_b32 v7, v1, v1
	v_cndmask_b32_e64 v10, v4, v9, s3
	v_cndmask_b32_e64 v9, v3, v3, s3
	s_mov_b32 s3, exec_lo
	s_delay_alu instid0(VALU_DEP_1)
	v_cmpx_ngt_f64_e32 v[7:8], v[9:10]
	s_xor_b32 s3, exec_lo, s3
	s_cbranch_execnz .LBB60_34
; %bb.28:                               ;   in Loop: Header=BB60_9 Depth=2
	s_and_not1_saveexec_b32 s3, s3
	s_cbranch_execnz .LBB60_37
.LBB60_29:                              ;   in Loop: Header=BB60_9 Depth=2
	s_or_b32 exec_lo, exec_lo, s3
	s_delay_alu instid0(VALU_DEP_1) | instskip(NEXT) | instid1(VALU_DEP_1)
	v_cmp_class_f64_e64 s36, v[11:12], 0x1f8
	s_and_saveexec_b32 s3, s36
	s_cbranch_execz .LBB60_8
	s_branch .LBB60_38
.LBB60_30:                              ;   in Loop: Header=BB60_9 Depth=2
	v_ashrrev_i32_e32 v25, 31, v24
	s_mov_b32 s38, 0
                                        ; implicit-def: $sgpr37
                                        ; implicit-def: $sgpr40
                                        ; implicit-def: $sgpr39
	s_delay_alu instid0(VALU_DEP_1) | instskip(NEXT) | instid1(VALU_DEP_1)
	v_lshlrev_b64 v[11:12], 2, v[24:25]
	v_add_co_u32 v11, vcc_lo, s6, v11
	s_delay_alu instid0(VALU_DEP_2)
	v_add_co_ci_u32_e32 v12, vcc_lo, s7, v12, vcc_lo
	s_set_inst_prefetch_distance 0x1
	s_branch .LBB60_32
	.p2align	6
.LBB60_31:                              ;   in Loop: Header=BB60_32 Depth=3
	s_or_b32 exec_lo, exec_lo, s41
	s_delay_alu instid0(SALU_CYCLE_1) | instskip(NEXT) | instid1(SALU_CYCLE_1)
	s_and_b32 s3, exec_lo, s40
	s_or_b32 s38, s3, s38
	s_and_not1_b32 s3, s37, exec_lo
	s_and_b32 s37, s39, exec_lo
	s_delay_alu instid0(SALU_CYCLE_1)
	s_or_b32 s37, s3, s37
	s_and_not1_b32 exec_lo, exec_lo, s38
	s_cbranch_execz .LBB60_39
.LBB60_32:                              ;   Parent Loop BB60_5 Depth=1
                                        ;     Parent Loop BB60_9 Depth=2
                                        ; =>    This Inner Loop Header: Depth=3
	global_load_b32 v21, v[11:12], off
	v_dual_mov_b32 v27, v25 :: v_dual_mov_b32 v26, v24
	s_or_b32 s39, s39, exec_lo
	s_or_b32 s40, s40, exec_lo
	s_mov_b32 s41, exec_lo
                                        ; implicit-def: $vgpr24_vgpr25
	s_waitcnt vmcnt(0)
	v_subrev_nc_u32_e32 v21, s30, v21
	s_delay_alu instid0(VALU_DEP_1)
	v_cmpx_ne_u32_e64 v21, v15
	s_cbranch_execz .LBB60_31
; %bb.33:                               ;   in Loop: Header=BB60_32 Depth=3
	v_add_co_u32 v24, vcc_lo, v26, 1
	v_add_co_ci_u32_e32 v25, vcc_lo, 0, v27, vcc_lo
	v_add_co_u32 v11, s3, v11, 4
	s_delay_alu instid0(VALU_DEP_3) | instskip(SKIP_4) | instid1(SALU_CYCLE_1)
	v_cmp_ge_i32_e32 vcc_lo, v24, v36
	v_add_co_ci_u32_e64 v12, s3, 0, v12, s3
	s_and_not1_b32 s3, s40, exec_lo
	s_and_not1_b32 s39, s39, exec_lo
	s_and_b32 s40, vcc_lo, exec_lo
	s_or_b32 s40, s3, s40
	s_branch .LBB60_31
.LBB60_34:                              ;   in Loop: Header=BB60_9 Depth=2
	v_mov_b32_e32 v11, 0
	v_mov_b32_e32 v12, 0
	s_mov_b32 s36, exec_lo
	v_cmpx_neq_f64_e32 0, v[3:4]
	s_cbranch_execz .LBB60_36
; %bb.35:                               ;   in Loop: Header=BB60_9 Depth=2
	v_div_scale_f64 v[11:12], null, v[9:10], v[9:10], v[7:8]
	v_div_scale_f64 v[23:24], vcc_lo, v[7:8], v[9:10], v[7:8]
	s_delay_alu instid0(VALU_DEP_2) | instskip(SKIP_2) | instid1(VALU_DEP_1)
	v_rcp_f64_e32 v[19:20], v[11:12]
	s_waitcnt_depctr 0xfff
	v_fma_f64 v[21:22], -v[11:12], v[19:20], 1.0
	v_fma_f64 v[19:20], v[19:20], v[21:22], v[19:20]
	s_delay_alu instid0(VALU_DEP_1) | instskip(NEXT) | instid1(VALU_DEP_1)
	v_fma_f64 v[21:22], -v[11:12], v[19:20], 1.0
	v_fma_f64 v[19:20], v[19:20], v[21:22], v[19:20]
	s_delay_alu instid0(VALU_DEP_1) | instskip(NEXT) | instid1(VALU_DEP_1)
	v_mul_f64 v[21:22], v[23:24], v[19:20]
	v_fma_f64 v[11:12], -v[11:12], v[21:22], v[23:24]
	s_delay_alu instid0(VALU_DEP_1) | instskip(NEXT) | instid1(VALU_DEP_1)
	v_div_fmas_f64 v[11:12], v[11:12], v[19:20], v[21:22]
	v_div_fixup_f64 v[7:8], v[11:12], v[9:10], v[7:8]
	s_delay_alu instid0(VALU_DEP_1) | instskip(NEXT) | instid1(VALU_DEP_1)
	v_fma_f64 v[7:8], v[7:8], v[7:8], 1.0
	v_cmp_gt_f64_e32 vcc_lo, 0x10000000, v[7:8]
	v_cndmask_b32_e64 v11, 0, 1, vcc_lo
	s_delay_alu instid0(VALU_DEP_1) | instskip(NEXT) | instid1(VALU_DEP_1)
	v_lshlrev_b32_e32 v11, 8, v11
	v_ldexp_f64 v[7:8], v[7:8], v11
	s_delay_alu instid0(VALU_DEP_1) | instskip(SKIP_3) | instid1(VALU_DEP_1)
	v_rsq_f64_e32 v[11:12], v[7:8]
	s_waitcnt_depctr 0xfff
	v_mul_f64 v[19:20], v[7:8], v[11:12]
	v_mul_f64 v[11:12], v[11:12], 0.5
	v_fma_f64 v[21:22], -v[11:12], v[19:20], 0.5
	s_delay_alu instid0(VALU_DEP_1) | instskip(SKIP_1) | instid1(VALU_DEP_2)
	v_fma_f64 v[19:20], v[19:20], v[21:22], v[19:20]
	v_fma_f64 v[11:12], v[11:12], v[21:22], v[11:12]
	v_fma_f64 v[21:22], -v[19:20], v[19:20], v[7:8]
	s_delay_alu instid0(VALU_DEP_1) | instskip(NEXT) | instid1(VALU_DEP_1)
	v_fma_f64 v[19:20], v[21:22], v[11:12], v[19:20]
	v_fma_f64 v[21:22], -v[19:20], v[19:20], v[7:8]
	s_delay_alu instid0(VALU_DEP_1) | instskip(SKIP_2) | instid1(VALU_DEP_2)
	v_fma_f64 v[11:12], v[21:22], v[11:12], v[19:20]
	v_cndmask_b32_e64 v19, 0, 0xffffff80, vcc_lo
	v_cmp_class_f64_e64 vcc_lo, v[7:8], 0x260
	v_ldexp_f64 v[11:12], v[11:12], v19
	s_delay_alu instid0(VALU_DEP_1) | instskip(NEXT) | instid1(VALU_DEP_1)
	v_dual_cndmask_b32 v8, v12, v8 :: v_dual_cndmask_b32 v7, v11, v7
	v_mul_f64 v[11:12], v[9:10], v[7:8]
.LBB60_36:                              ;   in Loop: Header=BB60_9 Depth=2
	s_or_b32 exec_lo, exec_lo, s36
                                        ; implicit-def: $vgpr7_vgpr8
                                        ; implicit-def: $vgpr9_vgpr10
	s_and_not1_saveexec_b32 s3, s3
	s_cbranch_execz .LBB60_29
.LBB60_37:                              ;   in Loop: Header=BB60_9 Depth=2
	v_div_scale_f64 v[11:12], null, v[7:8], v[7:8], v[9:10]
	v_div_scale_f64 v[23:24], vcc_lo, v[9:10], v[7:8], v[9:10]
	s_delay_alu instid0(VALU_DEP_2) | instskip(SKIP_2) | instid1(VALU_DEP_1)
	v_rcp_f64_e32 v[19:20], v[11:12]
	s_waitcnt_depctr 0xfff
	v_fma_f64 v[21:22], -v[11:12], v[19:20], 1.0
	v_fma_f64 v[19:20], v[19:20], v[21:22], v[19:20]
	s_delay_alu instid0(VALU_DEP_1) | instskip(NEXT) | instid1(VALU_DEP_1)
	v_fma_f64 v[21:22], -v[11:12], v[19:20], 1.0
	v_fma_f64 v[19:20], v[19:20], v[21:22], v[19:20]
	s_delay_alu instid0(VALU_DEP_1) | instskip(NEXT) | instid1(VALU_DEP_1)
	v_mul_f64 v[21:22], v[23:24], v[19:20]
	v_fma_f64 v[11:12], -v[11:12], v[21:22], v[23:24]
	s_delay_alu instid0(VALU_DEP_1) | instskip(NEXT) | instid1(VALU_DEP_1)
	v_div_fmas_f64 v[11:12], v[11:12], v[19:20], v[21:22]
	v_div_fixup_f64 v[9:10], v[11:12], v[7:8], v[9:10]
	s_delay_alu instid0(VALU_DEP_1) | instskip(NEXT) | instid1(VALU_DEP_1)
	v_fma_f64 v[9:10], v[9:10], v[9:10], 1.0
	v_cmp_gt_f64_e32 vcc_lo, 0x10000000, v[9:10]
	v_cndmask_b32_e64 v11, 0, 1, vcc_lo
	s_delay_alu instid0(VALU_DEP_1) | instskip(NEXT) | instid1(VALU_DEP_1)
	v_lshlrev_b32_e32 v11, 8, v11
	v_ldexp_f64 v[9:10], v[9:10], v11
	s_delay_alu instid0(VALU_DEP_1) | instskip(SKIP_3) | instid1(VALU_DEP_1)
	v_rsq_f64_e32 v[11:12], v[9:10]
	s_waitcnt_depctr 0xfff
	v_mul_f64 v[19:20], v[9:10], v[11:12]
	v_mul_f64 v[11:12], v[11:12], 0.5
	v_fma_f64 v[21:22], -v[11:12], v[19:20], 0.5
	s_delay_alu instid0(VALU_DEP_1) | instskip(SKIP_1) | instid1(VALU_DEP_2)
	v_fma_f64 v[19:20], v[19:20], v[21:22], v[19:20]
	v_fma_f64 v[11:12], v[11:12], v[21:22], v[11:12]
	v_fma_f64 v[21:22], -v[19:20], v[19:20], v[9:10]
	s_delay_alu instid0(VALU_DEP_1) | instskip(NEXT) | instid1(VALU_DEP_1)
	v_fma_f64 v[19:20], v[21:22], v[11:12], v[19:20]
	v_fma_f64 v[21:22], -v[19:20], v[19:20], v[9:10]
	s_delay_alu instid0(VALU_DEP_1) | instskip(SKIP_2) | instid1(VALU_DEP_2)
	v_fma_f64 v[11:12], v[21:22], v[11:12], v[19:20]
	v_cndmask_b32_e64 v19, 0, 0xffffff80, vcc_lo
	v_cmp_class_f64_e64 vcc_lo, v[9:10], 0x260
	v_ldexp_f64 v[11:12], v[11:12], v19
	s_delay_alu instid0(VALU_DEP_1) | instskip(NEXT) | instid1(VALU_DEP_1)
	v_dual_cndmask_b32 v10, v12, v10 :: v_dual_cndmask_b32 v9, v11, v9
	v_mul_f64 v[11:12], v[7:8], v[9:10]
	s_or_b32 exec_lo, exec_lo, s3
	s_delay_alu instid0(VALU_DEP_1) | instskip(NEXT) | instid1(VALU_DEP_1)
	v_cmp_class_f64_e64 s36, v[11:12], 0x1f8
	s_and_saveexec_b32 s3, s36
	s_cbranch_execz .LBB60_8
.LBB60_38:                              ;   in Loop: Header=BB60_9 Depth=2
	v_add_co_u32 v7, vcc_lo, s10, v17
	v_add_co_ci_u32_e32 v8, vcc_lo, s11, v18, vcc_lo
	global_store_b128 v[7:8], v[1:4], off
	s_branch .LBB60_8
.LBB60_39:                              ;   in Loop: Header=BB60_9 Depth=2
	s_set_inst_prefetch_distance 0x2
	s_or_b32 exec_lo, exec_lo, s38
	s_and_saveexec_b32 s3, s37
	s_delay_alu instid0(SALU_CYCLE_1)
	s_xor_b32 s3, exec_lo, s3
	s_cbranch_execz .LBB60_41
; %bb.40:                               ;   in Loop: Header=BB60_9 Depth=2
	v_lshlrev_b64 v[11:12], 2, v[26:27]
	s_delay_alu instid0(VALU_DEP_1) | instskip(NEXT) | instid1(VALU_DEP_2)
	v_add_co_u32 v11, vcc_lo, s8, v11
	v_add_co_ci_u32_e32 v12, vcc_lo, s9, v12, vcc_lo
	global_load_b32 v11, v[11:12], off
	s_waitcnt vmcnt(0)
	v_ashrrev_i32_e32 v12, 31, v11
	s_delay_alu instid0(VALU_DEP_1) | instskip(NEXT) | instid1(VALU_DEP_1)
	v_lshlrev_b64 v[11:12], 4, v[11:12]
	v_add_co_u32 v11, vcc_lo, s10, v11
	s_delay_alu instid0(VALU_DEP_2)
	v_add_co_ci_u32_e32 v12, vcc_lo, s11, v12, vcc_lo
	global_load_b128 v[24:27], v[11:12], off
	s_waitcnt vmcnt(0)
	v_add_f64 v[22:23], v[22:23], v[24:25]
	v_add_f64 v[9:10], v[9:10], v[26:27]
.LBB60_41:                              ;   in Loop: Header=BB60_9 Depth=2
	s_or_b32 exec_lo, exec_lo, s3
	s_delay_alu instid0(SALU_CYCLE_1) | instskip(NEXT) | instid1(SALU_CYCLE_1)
	s_or_b32 exec_lo, exec_lo, s36
	s_mov_b32 s36, exec_lo
	v_cmpx_lt_i32_e64 v20, v33
	s_cbranch_execz .LBB60_19
.LBB60_42:                              ;   in Loop: Header=BB60_9 Depth=2
	v_ashrrev_i32_e32 v21, 31, v20
	s_mov_b32 s38, 0
                                        ; implicit-def: $sgpr37
                                        ; implicit-def: $sgpr40
                                        ; implicit-def: $sgpr39
	s_delay_alu instid0(VALU_DEP_1) | instskip(NEXT) | instid1(VALU_DEP_1)
	v_lshlrev_b64 v[11:12], 2, v[20:21]
	v_add_co_u32 v11, vcc_lo, s16, v11
	s_delay_alu instid0(VALU_DEP_2)
	v_add_co_ci_u32_e32 v12, vcc_lo, s17, v12, vcc_lo
	s_set_inst_prefetch_distance 0x1
	s_branch .LBB60_44
	.p2align	6
.LBB60_43:                              ;   in Loop: Header=BB60_44 Depth=3
	s_or_b32 exec_lo, exec_lo, s41
	s_delay_alu instid0(SALU_CYCLE_1) | instskip(NEXT) | instid1(SALU_CYCLE_1)
	s_and_b32 s3, exec_lo, s40
	s_or_b32 s38, s3, s38
	s_and_not1_b32 s3, s37, exec_lo
	s_and_b32 s37, s39, exec_lo
	s_delay_alu instid0(SALU_CYCLE_1)
	s_or_b32 s37, s3, s37
	s_and_not1_b32 exec_lo, exec_lo, s38
	s_cbranch_execz .LBB60_46
.LBB60_44:                              ;   Parent Loop BB60_5 Depth=1
                                        ;     Parent Loop BB60_9 Depth=2
                                        ; =>    This Inner Loop Header: Depth=3
	global_load_b32 v26, v[11:12], off
	v_dual_mov_b32 v25, v21 :: v_dual_mov_b32 v24, v20
	s_or_b32 s39, s39, exec_lo
	s_or_b32 s40, s40, exec_lo
	s_mov_b32 s41, exec_lo
                                        ; implicit-def: $vgpr20_vgpr21
	s_waitcnt vmcnt(0)
	v_cmpx_ne_u32_e64 v26, v35
	s_cbranch_execz .LBB60_43
; %bb.45:                               ;   in Loop: Header=BB60_44 Depth=3
	v_add_co_u32 v20, vcc_lo, v24, 1
	v_add_co_ci_u32_e32 v21, vcc_lo, 0, v25, vcc_lo
	v_add_co_u32 v11, s3, v11, 4
	s_delay_alu instid0(VALU_DEP_3) | instskip(SKIP_4) | instid1(SALU_CYCLE_1)
	v_cmp_ge_i32_e32 vcc_lo, v20, v33
	v_add_co_ci_u32_e64 v12, s3, 0, v12, s3
	s_and_not1_b32 s3, s40, exec_lo
	s_and_not1_b32 s39, s39, exec_lo
	s_and_b32 s40, vcc_lo, exec_lo
	s_or_b32 s40, s3, s40
	s_branch .LBB60_43
.LBB60_46:                              ;   in Loop: Header=BB60_9 Depth=2
	s_set_inst_prefetch_distance 0x2
	s_or_b32 exec_lo, exec_lo, s38
	s_and_saveexec_b32 s3, s37
	s_delay_alu instid0(SALU_CYCLE_1)
	s_xor_b32 s3, exec_lo, s3
	s_cbranch_execz .LBB60_48
; %bb.47:                               ;   in Loop: Header=BB60_9 Depth=2
	v_lshlrev_b64 v[11:12], 4, v[24:25]
	s_delay_alu instid0(VALU_DEP_1) | instskip(NEXT) | instid1(VALU_DEP_2)
	v_add_co_u32 v11, vcc_lo, s10, v11
	v_add_co_ci_u32_e32 v12, vcc_lo, s11, v12, vcc_lo
	global_load_b128 v[24:27], v[11:12], off
	s_waitcnt vmcnt(0)
	v_fma_f64 v[11:12], v[24:25], v[5:6], v[22:23]
	v_fma_f64 v[9:10], v[26:27], v[5:6], v[9:10]
	s_delay_alu instid0(VALU_DEP_2) | instskip(NEXT) | instid1(VALU_DEP_2)
	v_fma_f64 v[22:23], -v[26:27], v[7:8], v[11:12]
	v_fma_f64 v[9:10], v[24:25], v[7:8], v[9:10]
.LBB60_48:                              ;   in Loop: Header=BB60_9 Depth=2
	s_or_b32 exec_lo, exec_lo, s3
	s_delay_alu instid0(SALU_CYCLE_1) | instskip(NEXT) | instid1(SALU_CYCLE_1)
	s_or_b32 exec_lo, exec_lo, s36
	s_mov_b32 s3, exec_lo
	v_cmpx_eq_u32_e64 v15, v19
	s_cbranch_execnz .LBB60_20
	s_branch .LBB60_21
.LBB60_49:
	s_or_b32 exec_lo, exec_lo, s29
	v_mbcnt_lo_u32_b32 v5, -1, 0
	s_delay_alu instid0(VALU_DEP_1) | instskip(SKIP_2) | instid1(VALU_DEP_3)
	v_xor_b32_e32 v1, 8, v5
	v_xor_b32_e32 v3, 4, v5
	;; [unrolled: 1-line block ×3, first 2 shown]
	v_cmp_gt_i32_e32 vcc_lo, 32, v1
	s_delay_alu instid0(VALU_DEP_3) | instskip(SKIP_1) | instid1(VALU_DEP_2)
	v_cmp_gt_i32_e64 s2, 32, v3
	v_cndmask_b32_e32 v1, v5, v1, vcc_lo
	v_cndmask_b32_e64 v3, v5, v3, s2
	v_cmp_gt_i32_e64 s2, 32, v6
	s_delay_alu instid0(VALU_DEP_3) | instskip(NEXT) | instid1(VALU_DEP_2)
	v_lshlrev_b32_e32 v2, 2, v1
	v_cndmask_b32_e64 v6, v5, v6, s2
	ds_bpermute_b32 v1, v2, v13
	ds_bpermute_b32 v2, v2, v14
	v_lshlrev_b32_e32 v6, 2, v6
	s_waitcnt lgkmcnt(0)
	v_cmp_lt_f64_e32 vcc_lo, v[13:14], v[1:2]
	v_dual_cndmask_b32 v2, v14, v2 :: v_dual_lshlrev_b32 v3, 2, v3
	v_cndmask_b32_e32 v1, v13, v1, vcc_lo
	ds_bpermute_b32 v4, v3, v2
	ds_bpermute_b32 v3, v3, v1
	s_waitcnt lgkmcnt(0)
	v_cmp_lt_f64_e32 vcc_lo, v[1:2], v[3:4]
	v_dual_cndmask_b32 v2, v2, v4 :: v_dual_cndmask_b32 v1, v1, v3
	ds_bpermute_b32 v4, v6, v2
	ds_bpermute_b32 v3, v6, v1
	v_xor_b32_e32 v6, 1, v5
	s_delay_alu instid0(VALU_DEP_1) | instskip(NEXT) | instid1(VALU_DEP_1)
	v_cmp_gt_i32_e64 s2, 32, v6
	v_cndmask_b32_e64 v5, v5, v6, s2
	s_mov_b32 s2, exec_lo
	s_waitcnt lgkmcnt(0)
	v_cmp_lt_f64_e32 vcc_lo, v[1:2], v[3:4]
	s_delay_alu instid0(VALU_DEP_2)
	v_dual_cndmask_b32 v2, v2, v4 :: v_dual_lshlrev_b32 v5, 2, v5
	v_cndmask_b32_e32 v1, v1, v3, vcc_lo
	ds_bpermute_b32 v4, v5, v2
	ds_bpermute_b32 v3, v5, v1
	v_cmpx_eq_u32_e32 15, v29
	s_cbranch_execz .LBB60_51
; %bb.50:
	s_waitcnt lgkmcnt(0)
	v_cmp_lt_f64_e32 vcc_lo, v[1:2], v[3:4]
	v_lshlrev_b32_e32 v5, 3, v28
	v_dual_cndmask_b32 v2, v2, v4 :: v_dual_cndmask_b32 v1, v1, v3
	ds_store_b64 v5, v[1:2]
.LBB60_51:
	s_or_b32 exec_lo, exec_lo, s2
	v_lshlrev_b32_e32 v1, 3, v0
	s_mov_b32 s2, exec_lo
	s_waitcnt lgkmcnt(0)
	s_waitcnt_vscnt null, 0x0
	s_barrier
	buffer_gl0_inv
	v_cmpx_gt_u32_e32 32, v0
	s_cbranch_execz .LBB60_53
; %bb.52:
	ds_load_2addr_b64 v[2:5], v1 offset1:32
	s_waitcnt lgkmcnt(0)
	v_cmp_lt_f64_e32 vcc_lo, v[2:3], v[4:5]
	v_dual_cndmask_b32 v3, v3, v5 :: v_dual_cndmask_b32 v2, v2, v4
	ds_store_b64 v1, v[2:3]
.LBB60_53:
	s_or_b32 exec_lo, exec_lo, s2
	s_delay_alu instid0(SALU_CYCLE_1)
	s_mov_b32 s2, exec_lo
	s_waitcnt lgkmcnt(0)
	s_barrier
	buffer_gl0_inv
	v_cmpx_gt_u32_e32 16, v0
	s_cbranch_execz .LBB60_55
; %bb.54:
	ds_load_2addr_b64 v[2:5], v1 offset1:16
	s_waitcnt lgkmcnt(0)
	v_cmp_lt_f64_e32 vcc_lo, v[2:3], v[4:5]
	v_dual_cndmask_b32 v3, v3, v5 :: v_dual_cndmask_b32 v2, v2, v4
	ds_store_b64 v1, v[2:3]
.LBB60_55:
	s_or_b32 exec_lo, exec_lo, s2
	s_delay_alu instid0(SALU_CYCLE_1)
	s_mov_b32 s2, exec_lo
	s_waitcnt lgkmcnt(0)
	;; [unrolled: 15-line block ×4, first 2 shown]
	s_barrier
	buffer_gl0_inv
	v_cmpx_gt_u32_e32 2, v0
	s_cbranch_execz .LBB60_61
; %bb.60:
	ds_load_2addr_b64 v[2:5], v1 offset1:2
	s_waitcnt lgkmcnt(0)
	v_cmp_lt_f64_e32 vcc_lo, v[2:3], v[4:5]
	v_dual_cndmask_b32 v3, v3, v5 :: v_dual_cndmask_b32 v2, v2, v4
	ds_store_b64 v1, v[2:3]
.LBB60_61:
	s_or_b32 exec_lo, exec_lo, s2
	v_cmp_eq_u32_e32 vcc_lo, 0, v0
	s_waitcnt lgkmcnt(0)
	s_barrier
	buffer_gl0_inv
	s_and_saveexec_b32 s3, vcc_lo
	s_cbranch_execz .LBB60_63
; %bb.62:
	v_mov_b32_e32 v4, 0
	ds_load_b128 v[0:3], v4
	s_waitcnt lgkmcnt(0)
	v_cmp_lt_f64_e64 s2, v[0:1], v[2:3]
	s_delay_alu instid0(VALU_DEP_1)
	v_cndmask_b32_e64 v1, v1, v3, s2
	v_cndmask_b32_e64 v0, v0, v2, s2
	ds_store_b64 v4, v[0:1]
.LBB60_63:
	s_or_b32 exec_lo, exec_lo, s3
	s_waitcnt lgkmcnt(0)
	s_barrier
	buffer_gl0_inv
	s_and_saveexec_b32 s2, vcc_lo
	s_cbranch_execz .LBB60_68
; %bb.64:
	s_load_b128 s[4:7], s[0:1], 0x70
	v_mov_b32_e32 v4, 0
	s_brev_b32 s3, 1
	s_mov_b32 s2, 0
	ds_load_b64 v[0:1], v4
	s_waitcnt lgkmcnt(0)
	s_load_b64 s[0:1], s[6:7], 0x0
	global_load_b64 v[2:3], v4, s[4:5] glc
	s_waitcnt lgkmcnt(0)
	v_div_scale_f64 v[5:6], null, s[0:1], s[0:1], v[0:1]
	s_delay_alu instid0(VALU_DEP_1) | instskip(SKIP_2) | instid1(VALU_DEP_1)
	v_rcp_f64_e32 v[7:8], v[5:6]
	s_waitcnt_depctr 0xfff
	v_fma_f64 v[9:10], -v[5:6], v[7:8], 1.0
	v_fma_f64 v[7:8], v[7:8], v[9:10], v[7:8]
	s_delay_alu instid0(VALU_DEP_1) | instskip(NEXT) | instid1(VALU_DEP_1)
	v_fma_f64 v[9:10], -v[5:6], v[7:8], 1.0
	v_fma_f64 v[7:8], v[7:8], v[9:10], v[7:8]
	v_div_scale_f64 v[9:10], vcc_lo, v[0:1], s[0:1], v[0:1]
	s_delay_alu instid0(VALU_DEP_1) | instskip(NEXT) | instid1(VALU_DEP_1)
	v_mul_f64 v[11:12], v[9:10], v[7:8]
	v_fma_f64 v[5:6], -v[5:6], v[11:12], v[9:10]
	s_waitcnt vmcnt(0)
	v_cmp_eq_u64_e64 s6, s[2:3], v[2:3]
                                        ; implicit-def: $sgpr3
	s_delay_alu instid0(VALU_DEP_2) | instskip(NEXT) | instid1(VALU_DEP_1)
	v_div_fmas_f64 v[5:6], v[5:6], v[7:8], v[11:12]
	v_div_fixup_f64 v[0:1], v[5:6], s[0:1], v[0:1]
                                        ; implicit-def: $sgpr1
	s_delay_alu instid0(VALU_DEP_1)
	v_cmp_eq_f64_e32 vcc_lo, 0, v[0:1]
	s_set_inst_prefetch_distance 0x1
	s_branch .LBB60_66
	.p2align	6
.LBB60_65:                              ;   in Loop: Header=BB60_66 Depth=1
	s_or_b32 exec_lo, exec_lo, s7
	s_delay_alu instid0(SALU_CYCLE_1) | instskip(NEXT) | instid1(SALU_CYCLE_1)
	s_and_b32 s0, exec_lo, s1
	s_or_b32 s2, s0, s2
	s_and_not1_b32 s0, s6, exec_lo
	s_and_b32 s6, s3, exec_lo
	s_delay_alu instid0(SALU_CYCLE_1)
	s_or_b32 s6, s0, s6
	s_and_not1_b32 exec_lo, exec_lo, s2
	s_cbranch_execz .LBB60_68
.LBB60_66:                              ; =>This Inner Loop Header: Depth=1
	v_cmp_lt_f64_e64 s0, v[2:3], v[0:1]
	s_and_b32 s7, vcc_lo, s6
	s_and_not1_b32 s3, s3, exec_lo
	s_or_b32 s1, s1, exec_lo
	s_delay_alu instid0(VALU_DEP_1) | instskip(NEXT) | instid1(SALU_CYCLE_1)
	s_or_b32 s0, s0, s7
	s_and_saveexec_b32 s7, s0
	s_cbranch_execz .LBB60_65
; %bb.67:                               ;   in Loop: Header=BB60_66 Depth=1
	global_atomic_cmpswap_b64 v[5:6], v4, v[0:3], s[4:5] glc
	s_and_not1_b32 s3, s3, exec_lo
	s_and_not1_b32 s1, s1, exec_lo
	s_waitcnt vmcnt(0)
	v_cmp_eq_u64_e64 s0, v[5:6], v[2:3]
	s_delay_alu instid0(VALU_DEP_1) | instskip(SKIP_2) | instid1(SALU_CYCLE_1)
	v_cndmask_b32_e64 v3, v6, v3, s0
	v_cndmask_b32_e64 v2, v5, v2, s0
	s_and_b32 s0, s0, exec_lo
	s_or_b32 s1, s1, s0
	s_delay_alu instid0(VALU_DEP_1) | instskip(SKIP_1) | instid1(VALU_DEP_2)
	v_cmp_class_f64_e64 s6, v[2:3], 32
	v_dual_mov_b32 v2, v5 :: v_dual_mov_b32 v3, v6
	s_and_b32 s6, s6, exec_lo
	s_delay_alu instid0(SALU_CYCLE_1)
	s_or_b32 s3, s3, s6
                                        ; implicit-def: $sgpr6
	s_branch .LBB60_65
.LBB60_68:
	s_set_inst_prefetch_distance 0x2
	s_endpgm
	.section	.rodata,"a",@progbits
	.p2align	6, 0x0
	.amdhsa_kernel _ZN9rocsparseL16kernel_calculateILi1024ELi16ELb1E21rocsparse_complex_numIdEiiEEvT4_T3_PKS4_S6_PKS3_PKT2_21rocsparse_index_base_S6_S6_S8_S6_S6_S8_S6_PS9_PNS_15floating_traitsIS9_E6data_tEPKSG_
		.amdhsa_group_segment_fixed_size 512
		.amdhsa_private_segment_fixed_size 0
		.amdhsa_kernarg_size 128
		.amdhsa_user_sgpr_count 15
		.amdhsa_user_sgpr_dispatch_ptr 0
		.amdhsa_user_sgpr_queue_ptr 0
		.amdhsa_user_sgpr_kernarg_segment_ptr 1
		.amdhsa_user_sgpr_dispatch_id 0
		.amdhsa_user_sgpr_private_segment_size 0
		.amdhsa_wavefront_size32 1
		.amdhsa_uses_dynamic_stack 0
		.amdhsa_enable_private_segment 0
		.amdhsa_system_sgpr_workgroup_id_x 1
		.amdhsa_system_sgpr_workgroup_id_y 0
		.amdhsa_system_sgpr_workgroup_id_z 0
		.amdhsa_system_sgpr_workgroup_info 0
		.amdhsa_system_vgpr_workitem_id 0
		.amdhsa_next_free_vgpr 47
		.amdhsa_next_free_sgpr 42
		.amdhsa_reserve_vcc 1
		.amdhsa_float_round_mode_32 0
		.amdhsa_float_round_mode_16_64 0
		.amdhsa_float_denorm_mode_32 3
		.amdhsa_float_denorm_mode_16_64 3
		.amdhsa_dx10_clamp 1
		.amdhsa_ieee_mode 1
		.amdhsa_fp16_overflow 0
		.amdhsa_workgroup_processor_mode 1
		.amdhsa_memory_ordered 1
		.amdhsa_forward_progress 0
		.amdhsa_shared_vgpr_count 0
		.amdhsa_exception_fp_ieee_invalid_op 0
		.amdhsa_exception_fp_denorm_src 0
		.amdhsa_exception_fp_ieee_div_zero 0
		.amdhsa_exception_fp_ieee_overflow 0
		.amdhsa_exception_fp_ieee_underflow 0
		.amdhsa_exception_fp_ieee_inexact 0
		.amdhsa_exception_int_div_zero 0
	.end_amdhsa_kernel
	.section	.text._ZN9rocsparseL16kernel_calculateILi1024ELi16ELb1E21rocsparse_complex_numIdEiiEEvT4_T3_PKS4_S6_PKS3_PKT2_21rocsparse_index_base_S6_S6_S8_S6_S6_S8_S6_PS9_PNS_15floating_traitsIS9_E6data_tEPKSG_,"axG",@progbits,_ZN9rocsparseL16kernel_calculateILi1024ELi16ELb1E21rocsparse_complex_numIdEiiEEvT4_T3_PKS4_S6_PKS3_PKT2_21rocsparse_index_base_S6_S6_S8_S6_S6_S8_S6_PS9_PNS_15floating_traitsIS9_E6data_tEPKSG_,comdat
.Lfunc_end60:
	.size	_ZN9rocsparseL16kernel_calculateILi1024ELi16ELb1E21rocsparse_complex_numIdEiiEEvT4_T3_PKS4_S6_PKS3_PKT2_21rocsparse_index_base_S6_S6_S8_S6_S6_S8_S6_PS9_PNS_15floating_traitsIS9_E6data_tEPKSG_, .Lfunc_end60-_ZN9rocsparseL16kernel_calculateILi1024ELi16ELb1E21rocsparse_complex_numIdEiiEEvT4_T3_PKS4_S6_PKS3_PKT2_21rocsparse_index_base_S6_S6_S8_S6_S6_S8_S6_PS9_PNS_15floating_traitsIS9_E6data_tEPKSG_
                                        ; -- End function
	.section	.AMDGPU.csdata,"",@progbits
; Kernel info:
; codeLenInByte = 4592
; NumSgprs: 44
; NumVgprs: 47
; ScratchSize: 0
; MemoryBound: 1
; FloatMode: 240
; IeeeMode: 1
; LDSByteSize: 512 bytes/workgroup (compile time only)
; SGPRBlocks: 5
; VGPRBlocks: 5
; NumSGPRsForWavesPerEU: 44
; NumVGPRsForWavesPerEU: 47
; Occupancy: 16
; WaveLimiterHint : 1
; COMPUTE_PGM_RSRC2:SCRATCH_EN: 0
; COMPUTE_PGM_RSRC2:USER_SGPR: 15
; COMPUTE_PGM_RSRC2:TRAP_HANDLER: 0
; COMPUTE_PGM_RSRC2:TGID_X_EN: 1
; COMPUTE_PGM_RSRC2:TGID_Y_EN: 0
; COMPUTE_PGM_RSRC2:TGID_Z_EN: 0
; COMPUTE_PGM_RSRC2:TIDIG_COMP_CNT: 0
	.section	.text._ZN9rocsparseL16kernel_calculateILi1024ELi32ELb1E21rocsparse_complex_numIdEiiEEvT4_T3_PKS4_S6_PKS3_PKT2_21rocsparse_index_base_S6_S6_S8_S6_S6_S8_S6_PS9_PNS_15floating_traitsIS9_E6data_tEPKSG_,"axG",@progbits,_ZN9rocsparseL16kernel_calculateILi1024ELi32ELb1E21rocsparse_complex_numIdEiiEEvT4_T3_PKS4_S6_PKS3_PKT2_21rocsparse_index_base_S6_S6_S8_S6_S6_S8_S6_PS9_PNS_15floating_traitsIS9_E6data_tEPKSG_,comdat
	.globl	_ZN9rocsparseL16kernel_calculateILi1024ELi32ELb1E21rocsparse_complex_numIdEiiEEvT4_T3_PKS4_S6_PKS3_PKT2_21rocsparse_index_base_S6_S6_S8_S6_S6_S8_S6_PS9_PNS_15floating_traitsIS9_E6data_tEPKSG_ ; -- Begin function _ZN9rocsparseL16kernel_calculateILi1024ELi32ELb1E21rocsparse_complex_numIdEiiEEvT4_T3_PKS4_S6_PKS3_PKT2_21rocsparse_index_base_S6_S6_S8_S6_S6_S8_S6_PS9_PNS_15floating_traitsIS9_E6data_tEPKSG_
	.p2align	8
	.type	_ZN9rocsparseL16kernel_calculateILi1024ELi32ELb1E21rocsparse_complex_numIdEiiEEvT4_T3_PKS4_S6_PKS3_PKT2_21rocsparse_index_base_S6_S6_S8_S6_S6_S8_S6_PS9_PNS_15floating_traitsIS9_E6data_tEPKSG_,@function
_ZN9rocsparseL16kernel_calculateILi1024ELi32ELb1E21rocsparse_complex_numIdEiiEEvT4_T3_PKS4_S6_PKS3_PKT2_21rocsparse_index_base_S6_S6_S8_S6_S6_S8_S6_PS9_PNS_15floating_traitsIS9_E6data_tEPKSG_: ; @_ZN9rocsparseL16kernel_calculateILi1024ELi32ELb1E21rocsparse_complex_numIdEiiEEvT4_T3_PKS4_S6_PKS3_PKT2_21rocsparse_index_base_S6_S6_S8_S6_S6_S8_S6_PS9_PNS_15floating_traitsIS9_E6data_tEPKSG_
; %bb.0:
	s_load_b32 s28, s[0:1], 0x0
	v_lshrrev_b32_e32 v28, 5, v0
	v_mov_b32_e32 v13, 0
	v_dual_mov_b32 v14, 0 :: v_dual_and_b32 v29, 31, v0
	s_mov_b32 s29, exec_lo
	s_delay_alu instid0(VALU_DEP_3) | instskip(SKIP_1) | instid1(VALU_DEP_1)
	v_lshl_or_b32 v30, s15, 10, v28
	s_waitcnt lgkmcnt(0)
	v_cmpx_gt_i32_e64 s28, v30
	s_cbranch_execz .LBB61_49
; %bb.1:
	s_clause 0x3
	s_load_b32 s30, s[0:1], 0x28
	s_load_b256 s[4:11], s[0:1], 0x50
	s_load_b256 s[12:19], s[0:1], 0x30
	;; [unrolled: 1-line block ×3, first 2 shown]
	v_mov_b32_e32 v13, 0
	v_mov_b32_e32 v14, 0
	s_mov_b32 s31, 0
	s_waitcnt lgkmcnt(0)
	v_subrev_nc_u32_e32 v31, s30, v29
	s_branch .LBB61_5
.LBB61_2:                               ;   in Loop: Header=BB61_5 Depth=1
	s_or_b32 exec_lo, exec_lo, s35
.LBB61_3:                               ;   in Loop: Header=BB61_5 Depth=1
	s_delay_alu instid0(SALU_CYCLE_1)
	s_or_b32 exec_lo, exec_lo, s34
.LBB61_4:                               ;   in Loop: Header=BB61_5 Depth=1
	s_delay_alu instid0(SALU_CYCLE_1) | instskip(SKIP_1) | instid1(SALU_CYCLE_1)
	s_or_b32 exec_lo, exec_lo, s33
	s_add_i32 s31, s31, 1
	s_cmp_lg_u32 s31, 32
	s_cbranch_scc0 .LBB61_49
.LBB61_5:                               ; =>This Loop Header: Depth=1
                                        ;     Child Loop BB61_9 Depth 2
                                        ;       Child Loop BB61_12 Depth 3
                                        ;       Child Loop BB61_32 Depth 3
	;; [unrolled: 1-line block ×3, first 2 shown]
	v_lshl_add_u32 v15, s31, 5, v30
	s_mov_b32 s33, exec_lo
	s_delay_alu instid0(VALU_DEP_1)
	v_cmpx_gt_i32_e64 s28, v15
	s_cbranch_execz .LBB61_4
; %bb.6:                                ;   in Loop: Header=BB61_5 Depth=1
	v_ashrrev_i32_e32 v16, 31, v15
	s_mov_b32 s34, exec_lo
	s_delay_alu instid0(VALU_DEP_1) | instskip(NEXT) | instid1(VALU_DEP_1)
	v_lshlrev_b64 v[1:2], 2, v[15:16]
	v_add_co_u32 v3, vcc_lo, s22, v1
	s_delay_alu instid0(VALU_DEP_2)
	v_add_co_ci_u32_e32 v4, vcc_lo, s23, v2, vcc_lo
	v_add_co_u32 v5, vcc_lo, s20, v1
	v_add_co_ci_u32_e32 v6, vcc_lo, s21, v2, vcc_lo
	global_load_b32 v3, v[3:4], off
	global_load_b32 v4, v[5:6], off
	s_waitcnt vmcnt(1)
	v_subrev_nc_u32_e32 v32, s30, v3
	s_waitcnt vmcnt(0)
	v_add_nc_u32_e32 v16, v31, v4
	s_delay_alu instid0(VALU_DEP_1)
	v_cmpx_lt_i32_e64 v16, v32
	s_cbranch_execz .LBB61_3
; %bb.7:                                ;   in Loop: Header=BB61_5 Depth=1
	v_add_co_u32 v3, vcc_lo, s14, v1
	v_add_co_ci_u32_e32 v4, vcc_lo, s15, v2, vcc_lo
	v_add_co_u32 v1, vcc_lo, s12, v1
	v_add_co_ci_u32_e32 v2, vcc_lo, s13, v2, vcc_lo
	s_mov_b32 s35, 0
	global_load_b32 v3, v[3:4], off
	global_load_b32 v1, v[1:2], off
	s_waitcnt vmcnt(1)
	v_subrev_nc_u32_e32 v33, s30, v3
	s_waitcnt vmcnt(0)
	v_subrev_nc_u32_e32 v34, s30, v1
	v_cmp_lt_i32_e64 s2, v1, v3
	s_branch .LBB61_9
.LBB61_8:                               ;   in Loop: Header=BB61_9 Depth=2
	s_or_b32 exec_lo, exec_lo, s3
	v_cmp_nlg_f64_e64 s36, 0x7ff00000, |v[5:6]|
	v_cmp_gt_f64_e32 vcc_lo, v[13:14], v[5:6]
	s_delay_alu instid0(VALU_DEP_2) | instskip(SKIP_2) | instid1(VALU_DEP_2)
	s_or_b32 vcc_lo, s36, vcc_lo
	v_dual_cndmask_b32 v13, v5, v13 :: v_dual_add_nc_u32 v16, 32, v16
	v_cndmask_b32_e32 v14, v6, v14, vcc_lo
	v_cmp_ge_i32_e64 s3, v16, v32
	s_delay_alu instid0(VALU_DEP_1) | instskip(NEXT) | instid1(SALU_CYCLE_1)
	s_or_b32 s35, s3, s35
	s_and_not1_b32 exec_lo, exec_lo, s35
	s_cbranch_execz .LBB61_2
.LBB61_9:                               ;   Parent Loop BB61_5 Depth=1
                                        ; =>  This Loop Header: Depth=2
                                        ;       Child Loop BB61_12 Depth 3
                                        ;       Child Loop BB61_32 Depth 3
	;; [unrolled: 1-line block ×3, first 2 shown]
	v_ashrrev_i32_e32 v17, 31, v16
	v_mov_b32_e32 v22, 0
	v_mov_b32_e32 v23, 0
	s_delay_alu instid0(VALU_DEP_3) | instskip(SKIP_1) | instid1(VALU_DEP_2)
	v_lshlrev_b64 v[1:2], 2, v[16:17]
	v_lshlrev_b64 v[17:18], 4, v[16:17]
	v_add_co_u32 v1, vcc_lo, s24, v1
	s_delay_alu instid0(VALU_DEP_3) | instskip(SKIP_3) | instid1(VALU_DEP_1)
	v_add_co_ci_u32_e32 v2, vcc_lo, s25, v2, vcc_lo
	global_load_b32 v35, v[1:2], off
	s_waitcnt vmcnt(0)
	v_subrev_nc_u32_e32 v19, s30, v35
	v_ashrrev_i32_e32 v20, 31, v19
	s_delay_alu instid0(VALU_DEP_1) | instskip(NEXT) | instid1(VALU_DEP_1)
	v_lshlrev_b64 v[1:2], 2, v[19:20]
	v_add_co_u32 v3, vcc_lo, s14, v1
	s_delay_alu instid0(VALU_DEP_2)
	v_add_co_ci_u32_e32 v4, vcc_lo, s15, v2, vcc_lo
	v_add_co_u32 v5, vcc_lo, s4, v1
	v_add_co_ci_u32_e32 v6, vcc_lo, s5, v2, vcc_lo
	global_load_b32 v3, v[3:4], off
	v_add_co_u32 v1, vcc_lo, s18, v1
	v_add_co_ci_u32_e32 v2, vcc_lo, s19, v2, vcc_lo
	v_add_co_u32 v7, vcc_lo, s26, v17
	v_add_co_ci_u32_e32 v8, vcc_lo, s27, v18, vcc_lo
	global_load_b32 v20, v[5:6], off
	global_load_b32 v21, v[1:2], off
	s_waitcnt vmcnt(2)
	v_subrev_nc_u32_e32 v3, s30, v3
	s_delay_alu instid0(VALU_DEP_1)
	v_ashrrev_i32_e32 v4, 31, v3
	s_waitcnt vmcnt(1)
	v_subrev_nc_u32_e32 v36, s30, v20
	s_waitcnt vmcnt(0)
	v_subrev_nc_u32_e32 v24, s30, v21
	v_lshlrev_b64 v[3:4], 4, v[3:4]
	s_delay_alu instid0(VALU_DEP_1) | instskip(NEXT) | instid1(VALU_DEP_2)
	v_add_co_u32 v1, vcc_lo, s10, v3
	v_add_co_ci_u32_e32 v2, vcc_lo, s11, v4, vcc_lo
	v_cmp_lt_i32_e32 vcc_lo, v21, v20
	v_mov_b32_e32 v20, v34
	global_load_b128 v[9:12], v[7:8], off
	global_load_b128 v[5:8], v[1:2], off
	v_dual_mov_b32 v27, v23 :: v_dual_mov_b32 v26, v22
	s_and_b32 s3, s2, vcc_lo
	s_delay_alu instid0(SALU_CYCLE_1)
	s_and_saveexec_b32 s36, s3
	s_cbranch_execz .LBB61_15
; %bb.10:                               ;   in Loop: Header=BB61_9 Depth=2
	v_mov_b32_e32 v22, 0
	v_dual_mov_b32 v23, 0 :: v_dual_mov_b32 v20, v34
	s_mov_b32 s37, 0
	s_delay_alu instid0(VALU_DEP_1)
	v_dual_mov_b32 v27, v23 :: v_dual_mov_b32 v26, v22
	s_branch .LBB61_12
.LBB61_11:                              ;   in Loop: Header=BB61_12 Depth=3
	s_or_b32 exec_lo, exec_lo, s3
	v_cmp_le_i32_e32 vcc_lo, v3, v4
	v_add_co_ci_u32_e32 v20, vcc_lo, 0, v20, vcc_lo
	v_cmp_ge_i32_e32 vcc_lo, v3, v4
	v_add_co_ci_u32_e32 v24, vcc_lo, 0, v24, vcc_lo
	s_delay_alu instid0(VALU_DEP_3) | instskip(NEXT) | instid1(VALU_DEP_2)
	v_cmp_ge_i32_e32 vcc_lo, v20, v33
	v_cmp_ge_i32_e64 s3, v24, v36
	s_delay_alu instid0(VALU_DEP_1) | instskip(NEXT) | instid1(SALU_CYCLE_1)
	s_or_b32 s3, vcc_lo, s3
	s_and_b32 s3, exec_lo, s3
	s_delay_alu instid0(SALU_CYCLE_1) | instskip(NEXT) | instid1(SALU_CYCLE_1)
	s_or_b32 s37, s3, s37
	s_and_not1_b32 exec_lo, exec_lo, s37
	s_cbranch_execz .LBB61_14
.LBB61_12:                              ;   Parent Loop BB61_5 Depth=1
                                        ;     Parent Loop BB61_9 Depth=2
                                        ; =>    This Inner Loop Header: Depth=3
	s_delay_alu instid0(VALU_DEP_2) | instskip(SKIP_2) | instid1(VALU_DEP_2)
	v_ashrrev_i32_e32 v21, 31, v20
	v_ashrrev_i32_e32 v25, 31, v24
	s_mov_b32 s3, exec_lo
	v_lshlrev_b64 v[3:4], 2, v[20:21]
	s_delay_alu instid0(VALU_DEP_2) | instskip(NEXT) | instid1(VALU_DEP_2)
	v_lshlrev_b64 v[1:2], 2, v[24:25]
	v_add_co_u32 v3, vcc_lo, s16, v3
	s_delay_alu instid0(VALU_DEP_3) | instskip(NEXT) | instid1(VALU_DEP_3)
	v_add_co_ci_u32_e32 v4, vcc_lo, s17, v4, vcc_lo
	v_add_co_u32 v37, vcc_lo, s6, v1
	s_delay_alu instid0(VALU_DEP_4)
	v_add_co_ci_u32_e32 v38, vcc_lo, s7, v2, vcc_lo
	global_load_b32 v3, v[3:4], off
	global_load_b32 v4, v[37:38], off
	s_waitcnt vmcnt(0)
	v_cmpx_eq_u32_e64 v3, v4
	s_cbranch_execz .LBB61_11
; %bb.13:                               ;   in Loop: Header=BB61_12 Depth=3
	v_add_co_u32 v1, vcc_lo, s8, v1
	v_add_co_ci_u32_e32 v2, vcc_lo, s9, v2, vcc_lo
	v_lshlrev_b64 v[37:38], 4, v[20:21]
	global_load_b32 v1, v[1:2], off
	v_add_co_u32 v37, vcc_lo, s10, v37
	v_add_co_ci_u32_e32 v38, vcc_lo, s11, v38, vcc_lo
	s_waitcnt vmcnt(0)
	v_ashrrev_i32_e32 v2, 31, v1
	s_delay_alu instid0(VALU_DEP_1) | instskip(NEXT) | instid1(VALU_DEP_1)
	v_lshlrev_b64 v[1:2], 4, v[1:2]
	v_add_co_u32 v1, vcc_lo, s10, v1
	s_delay_alu instid0(VALU_DEP_2)
	v_add_co_ci_u32_e32 v2, vcc_lo, s11, v2, vcc_lo
	s_clause 0x1
	global_load_b128 v[37:40], v[37:38], off
	global_load_b128 v[41:44], v[1:2], off
	s_waitcnt vmcnt(0)
	v_fma_f64 v[1:2], v[37:38], v[41:42], v[22:23]
	v_fma_f64 v[25:26], v[39:40], v[41:42], v[26:27]
	s_delay_alu instid0(VALU_DEP_2) | instskip(NEXT) | instid1(VALU_DEP_2)
	v_fma_f64 v[22:23], -v[39:40], v[43:44], v[1:2]
	v_fma_f64 v[26:27], v[37:38], v[43:44], v[25:26]
	s_branch .LBB61_11
.LBB61_14:                              ;   in Loop: Header=BB61_9 Depth=2
	s_or_b32 exec_lo, exec_lo, s37
.LBB61_15:                              ;   in Loop: Header=BB61_9 Depth=2
	s_delay_alu instid0(SALU_CYCLE_1)
	s_or_b32 exec_lo, exec_lo, s36
	s_waitcnt vmcnt(1)
	v_add_f64 v[1:2], v[9:10], -v[22:23]
	v_add_f64 v[3:4], v[11:12], -v[26:27]
	s_mov_b32 s3, exec_lo
	v_cmpx_gt_i32_e64 v15, v19
	s_cbranch_execz .LBB61_17
; %bb.16:                               ;   in Loop: Header=BB61_9 Depth=2
	s_waitcnt vmcnt(0)
	v_mul_f64 v[37:38], v[7:8], v[7:8]
	s_delay_alu instid0(VALU_DEP_1) | instskip(NEXT) | instid1(VALU_DEP_1)
	v_fma_f64 v[37:38], v[5:6], v[5:6], v[37:38]
	v_div_scale_f64 v[39:40], null, v[37:38], v[37:38], 1.0
	v_div_scale_f64 v[45:46], vcc_lo, 1.0, v[37:38], 1.0
	s_delay_alu instid0(VALU_DEP_2) | instskip(SKIP_2) | instid1(VALU_DEP_1)
	v_rcp_f64_e32 v[41:42], v[39:40]
	s_waitcnt_depctr 0xfff
	v_fma_f64 v[43:44], -v[39:40], v[41:42], 1.0
	v_fma_f64 v[41:42], v[41:42], v[43:44], v[41:42]
	s_delay_alu instid0(VALU_DEP_1) | instskip(NEXT) | instid1(VALU_DEP_1)
	v_fma_f64 v[43:44], -v[39:40], v[41:42], 1.0
	v_fma_f64 v[41:42], v[41:42], v[43:44], v[41:42]
	s_delay_alu instid0(VALU_DEP_1) | instskip(NEXT) | instid1(VALU_DEP_1)
	v_mul_f64 v[43:44], v[45:46], v[41:42]
	v_fma_f64 v[39:40], -v[39:40], v[43:44], v[45:46]
	s_delay_alu instid0(VALU_DEP_1) | instskip(SKIP_2) | instid1(VALU_DEP_3)
	v_div_fmas_f64 v[39:40], v[39:40], v[41:42], v[43:44]
	v_mul_f64 v[41:42], v[7:8], v[3:4]
	v_mul_f64 v[43:44], v[7:8], -v[1:2]
	v_div_fixup_f64 v[37:38], v[39:40], v[37:38], 1.0
	s_delay_alu instid0(VALU_DEP_3) | instskip(NEXT) | instid1(VALU_DEP_3)
	v_fma_f64 v[1:2], v[1:2], v[5:6], v[41:42]
	v_fma_f64 v[3:4], v[3:4], v[5:6], v[43:44]
	s_delay_alu instid0(VALU_DEP_2) | instskip(NEXT) | instid1(VALU_DEP_2)
	v_mul_f64 v[1:2], v[37:38], v[1:2]
	v_mul_f64 v[3:4], v[37:38], v[3:4]
.LBB61_17:                              ;   in Loop: Header=BB61_9 Depth=2
	s_or_b32 exec_lo, exec_lo, s3
	v_add_f64 v[22:23], v[22:23], -v[9:10]
	v_add_f64 v[9:10], v[26:27], -v[11:12]
	s_mov_b32 s36, exec_lo
	v_cmpx_lt_i32_e64 v24, v36
	s_cbranch_execnz .LBB61_30
; %bb.18:                               ;   in Loop: Header=BB61_9 Depth=2
	s_or_b32 exec_lo, exec_lo, s36
	s_delay_alu instid0(SALU_CYCLE_1)
	s_mov_b32 s36, exec_lo
	v_cmpx_lt_i32_e64 v20, v33
	s_cbranch_execnz .LBB61_42
.LBB61_19:                              ;   in Loop: Header=BB61_9 Depth=2
	s_or_b32 exec_lo, exec_lo, s36
	s_delay_alu instid0(SALU_CYCLE_1)
	s_mov_b32 s3, exec_lo
	v_cmpx_eq_u32_e64 v15, v19
	s_cbranch_execz .LBB61_21
.LBB61_20:                              ;   in Loop: Header=BB61_9 Depth=2
	s_waitcnt vmcnt(0)
	s_delay_alu instid0(VALU_DEP_3) | instskip(NEXT) | instid1(VALU_DEP_3)
	v_add_f64 v[22:23], v[5:6], v[22:23]
	v_add_f64 v[9:10], v[7:8], v[9:10]
.LBB61_21:                              ;   in Loop: Header=BB61_9 Depth=2
	s_or_b32 exec_lo, exec_lo, s3
	s_delay_alu instid0(VALU_DEP_2) | instskip(NEXT) | instid1(VALU_DEP_2)
	v_cmp_gt_f64_e32 vcc_lo, 0, v[22:23]
	v_cmp_gt_f64_e64 s3, 0, v[9:10]
	s_waitcnt vmcnt(0)
	v_xor_b32_e32 v5, 0x80000000, v23
	v_xor_b32_e32 v6, 0x80000000, v10
	s_delay_alu instid0(VALU_DEP_2) | instskip(NEXT) | instid1(VALU_DEP_2)
	v_dual_cndmask_b32 v8, v23, v5 :: v_dual_cndmask_b32 v7, v22, v22
	v_cndmask_b32_e64 v12, v10, v6, s3
	v_cndmask_b32_e64 v11, v9, v9, s3
	s_mov_b32 s3, exec_lo
                                        ; implicit-def: $vgpr5_vgpr6
	s_delay_alu instid0(VALU_DEP_1)
	v_cmpx_ngt_f64_e32 v[7:8], v[11:12]
	s_xor_b32 s3, exec_lo, s3
	s_cbranch_execz .LBB61_25
; %bb.22:                               ;   in Loop: Header=BB61_9 Depth=2
	v_mov_b32_e32 v5, 0
	v_mov_b32_e32 v6, 0
	s_mov_b32 s36, exec_lo
	v_cmpx_neq_f64_e32 0, v[9:10]
	s_cbranch_execz .LBB61_24
; %bb.23:                               ;   in Loop: Header=BB61_9 Depth=2
	v_div_scale_f64 v[5:6], null, v[11:12], v[11:12], v[7:8]
	v_div_scale_f64 v[21:22], vcc_lo, v[7:8], v[11:12], v[7:8]
	s_delay_alu instid0(VALU_DEP_2) | instskip(SKIP_2) | instid1(VALU_DEP_1)
	v_rcp_f64_e32 v[9:10], v[5:6]
	s_waitcnt_depctr 0xfff
	v_fma_f64 v[19:20], -v[5:6], v[9:10], 1.0
	v_fma_f64 v[9:10], v[9:10], v[19:20], v[9:10]
	s_delay_alu instid0(VALU_DEP_1) | instskip(NEXT) | instid1(VALU_DEP_1)
	v_fma_f64 v[19:20], -v[5:6], v[9:10], 1.0
	v_fma_f64 v[9:10], v[9:10], v[19:20], v[9:10]
	s_delay_alu instid0(VALU_DEP_1) | instskip(NEXT) | instid1(VALU_DEP_1)
	v_mul_f64 v[19:20], v[21:22], v[9:10]
	v_fma_f64 v[5:6], -v[5:6], v[19:20], v[21:22]
	s_delay_alu instid0(VALU_DEP_1) | instskip(NEXT) | instid1(VALU_DEP_1)
	v_div_fmas_f64 v[5:6], v[5:6], v[9:10], v[19:20]
	v_div_fixup_f64 v[5:6], v[5:6], v[11:12], v[7:8]
	s_delay_alu instid0(VALU_DEP_1) | instskip(NEXT) | instid1(VALU_DEP_1)
	v_fma_f64 v[5:6], v[5:6], v[5:6], 1.0
	v_cmp_gt_f64_e32 vcc_lo, 0x10000000, v[5:6]
	v_cndmask_b32_e64 v7, 0, 1, vcc_lo
	s_delay_alu instid0(VALU_DEP_1) | instskip(NEXT) | instid1(VALU_DEP_1)
	v_lshlrev_b32_e32 v7, 8, v7
	v_ldexp_f64 v[5:6], v[5:6], v7
	s_delay_alu instid0(VALU_DEP_1) | instskip(SKIP_3) | instid1(VALU_DEP_1)
	v_rsq_f64_e32 v[7:8], v[5:6]
	s_waitcnt_depctr 0xfff
	v_mul_f64 v[9:10], v[5:6], v[7:8]
	v_mul_f64 v[7:8], v[7:8], 0.5
	v_fma_f64 v[19:20], -v[7:8], v[9:10], 0.5
	s_delay_alu instid0(VALU_DEP_1) | instskip(SKIP_1) | instid1(VALU_DEP_2)
	v_fma_f64 v[9:10], v[9:10], v[19:20], v[9:10]
	v_fma_f64 v[7:8], v[7:8], v[19:20], v[7:8]
	v_fma_f64 v[19:20], -v[9:10], v[9:10], v[5:6]
	s_delay_alu instid0(VALU_DEP_1) | instskip(NEXT) | instid1(VALU_DEP_1)
	v_fma_f64 v[9:10], v[19:20], v[7:8], v[9:10]
	v_fma_f64 v[19:20], -v[9:10], v[9:10], v[5:6]
	s_delay_alu instid0(VALU_DEP_1) | instskip(SKIP_2) | instid1(VALU_DEP_2)
	v_fma_f64 v[7:8], v[19:20], v[7:8], v[9:10]
	v_cndmask_b32_e64 v9, 0, 0xffffff80, vcc_lo
	v_cmp_class_f64_e64 vcc_lo, v[5:6], 0x260
	v_ldexp_f64 v[7:8], v[7:8], v9
	s_delay_alu instid0(VALU_DEP_1) | instskip(NEXT) | instid1(VALU_DEP_1)
	v_dual_cndmask_b32 v6, v8, v6 :: v_dual_cndmask_b32 v5, v7, v5
	v_mul_f64 v[5:6], v[11:12], v[5:6]
.LBB61_24:                              ;   in Loop: Header=BB61_9 Depth=2
	s_or_b32 exec_lo, exec_lo, s36
                                        ; implicit-def: $vgpr7_vgpr8
                                        ; implicit-def: $vgpr11_vgpr12
.LBB61_25:                              ;   in Loop: Header=BB61_9 Depth=2
	s_and_not1_saveexec_b32 s3, s3
	s_cbranch_execz .LBB61_27
; %bb.26:                               ;   in Loop: Header=BB61_9 Depth=2
	v_div_scale_f64 v[5:6], null, v[7:8], v[7:8], v[11:12]
	v_div_scale_f64 v[21:22], vcc_lo, v[11:12], v[7:8], v[11:12]
	s_delay_alu instid0(VALU_DEP_2) | instskip(SKIP_2) | instid1(VALU_DEP_1)
	v_rcp_f64_e32 v[9:10], v[5:6]
	s_waitcnt_depctr 0xfff
	v_fma_f64 v[19:20], -v[5:6], v[9:10], 1.0
	v_fma_f64 v[9:10], v[9:10], v[19:20], v[9:10]
	s_delay_alu instid0(VALU_DEP_1) | instskip(NEXT) | instid1(VALU_DEP_1)
	v_fma_f64 v[19:20], -v[5:6], v[9:10], 1.0
	v_fma_f64 v[9:10], v[9:10], v[19:20], v[9:10]
	s_delay_alu instid0(VALU_DEP_1) | instskip(NEXT) | instid1(VALU_DEP_1)
	v_mul_f64 v[19:20], v[21:22], v[9:10]
	v_fma_f64 v[5:6], -v[5:6], v[19:20], v[21:22]
	s_delay_alu instid0(VALU_DEP_1) | instskip(NEXT) | instid1(VALU_DEP_1)
	v_div_fmas_f64 v[5:6], v[5:6], v[9:10], v[19:20]
	v_div_fixup_f64 v[5:6], v[5:6], v[7:8], v[11:12]
	s_delay_alu instid0(VALU_DEP_1) | instskip(NEXT) | instid1(VALU_DEP_1)
	v_fma_f64 v[5:6], v[5:6], v[5:6], 1.0
	v_cmp_gt_f64_e32 vcc_lo, 0x10000000, v[5:6]
	v_cndmask_b32_e64 v9, 0, 1, vcc_lo
	s_delay_alu instid0(VALU_DEP_1) | instskip(NEXT) | instid1(VALU_DEP_1)
	v_lshlrev_b32_e32 v9, 8, v9
	v_ldexp_f64 v[5:6], v[5:6], v9
	s_delay_alu instid0(VALU_DEP_1) | instskip(SKIP_3) | instid1(VALU_DEP_1)
	v_rsq_f64_e32 v[9:10], v[5:6]
	s_waitcnt_depctr 0xfff
	v_mul_f64 v[11:12], v[5:6], v[9:10]
	v_mul_f64 v[9:10], v[9:10], 0.5
	v_fma_f64 v[19:20], -v[9:10], v[11:12], 0.5
	s_delay_alu instid0(VALU_DEP_1) | instskip(SKIP_1) | instid1(VALU_DEP_2)
	v_fma_f64 v[11:12], v[11:12], v[19:20], v[11:12]
	v_fma_f64 v[9:10], v[9:10], v[19:20], v[9:10]
	v_fma_f64 v[19:20], -v[11:12], v[11:12], v[5:6]
	s_delay_alu instid0(VALU_DEP_1) | instskip(NEXT) | instid1(VALU_DEP_1)
	v_fma_f64 v[11:12], v[19:20], v[9:10], v[11:12]
	v_fma_f64 v[19:20], -v[11:12], v[11:12], v[5:6]
	s_delay_alu instid0(VALU_DEP_1) | instskip(SKIP_2) | instid1(VALU_DEP_2)
	v_fma_f64 v[9:10], v[19:20], v[9:10], v[11:12]
	v_cndmask_b32_e64 v11, 0, 0xffffff80, vcc_lo
	v_cmp_class_f64_e64 vcc_lo, v[5:6], 0x260
	v_ldexp_f64 v[9:10], v[9:10], v11
	s_delay_alu instid0(VALU_DEP_1) | instskip(NEXT) | instid1(VALU_DEP_1)
	v_dual_cndmask_b32 v6, v10, v6 :: v_dual_cndmask_b32 v5, v9, v5
	v_mul_f64 v[5:6], v[7:8], v[5:6]
.LBB61_27:                              ;   in Loop: Header=BB61_9 Depth=2
	s_or_b32 exec_lo, exec_lo, s3
	v_cmp_gt_f64_e32 vcc_lo, 0, v[1:2]
	v_cmp_gt_f64_e64 s3, 0, v[3:4]
	v_xor_b32_e32 v7, 0x80000000, v2
	v_xor_b32_e32 v9, 0x80000000, v4
                                        ; implicit-def: $vgpr11_vgpr12
	s_delay_alu instid0(VALU_DEP_2) | instskip(NEXT) | instid1(VALU_DEP_2)
	v_dual_cndmask_b32 v8, v2, v7 :: v_dual_cndmask_b32 v7, v1, v1
	v_cndmask_b32_e64 v10, v4, v9, s3
	v_cndmask_b32_e64 v9, v3, v3, s3
	s_mov_b32 s3, exec_lo
	s_delay_alu instid0(VALU_DEP_1)
	v_cmpx_ngt_f64_e32 v[7:8], v[9:10]
	s_xor_b32 s3, exec_lo, s3
	s_cbranch_execnz .LBB61_34
; %bb.28:                               ;   in Loop: Header=BB61_9 Depth=2
	s_and_not1_saveexec_b32 s3, s3
	s_cbranch_execnz .LBB61_37
.LBB61_29:                              ;   in Loop: Header=BB61_9 Depth=2
	s_or_b32 exec_lo, exec_lo, s3
	s_delay_alu instid0(VALU_DEP_1) | instskip(NEXT) | instid1(VALU_DEP_1)
	v_cmp_class_f64_e64 s36, v[11:12], 0x1f8
	s_and_saveexec_b32 s3, s36
	s_cbranch_execz .LBB61_8
	s_branch .LBB61_38
.LBB61_30:                              ;   in Loop: Header=BB61_9 Depth=2
	v_ashrrev_i32_e32 v25, 31, v24
	s_mov_b32 s38, 0
                                        ; implicit-def: $sgpr37
                                        ; implicit-def: $sgpr40
                                        ; implicit-def: $sgpr39
	s_delay_alu instid0(VALU_DEP_1) | instskip(NEXT) | instid1(VALU_DEP_1)
	v_lshlrev_b64 v[11:12], 2, v[24:25]
	v_add_co_u32 v11, vcc_lo, s6, v11
	s_delay_alu instid0(VALU_DEP_2)
	v_add_co_ci_u32_e32 v12, vcc_lo, s7, v12, vcc_lo
	s_set_inst_prefetch_distance 0x1
	s_branch .LBB61_32
	.p2align	6
.LBB61_31:                              ;   in Loop: Header=BB61_32 Depth=3
	s_or_b32 exec_lo, exec_lo, s41
	s_delay_alu instid0(SALU_CYCLE_1) | instskip(NEXT) | instid1(SALU_CYCLE_1)
	s_and_b32 s3, exec_lo, s40
	s_or_b32 s38, s3, s38
	s_and_not1_b32 s3, s37, exec_lo
	s_and_b32 s37, s39, exec_lo
	s_delay_alu instid0(SALU_CYCLE_1)
	s_or_b32 s37, s3, s37
	s_and_not1_b32 exec_lo, exec_lo, s38
	s_cbranch_execz .LBB61_39
.LBB61_32:                              ;   Parent Loop BB61_5 Depth=1
                                        ;     Parent Loop BB61_9 Depth=2
                                        ; =>    This Inner Loop Header: Depth=3
	global_load_b32 v21, v[11:12], off
	v_dual_mov_b32 v27, v25 :: v_dual_mov_b32 v26, v24
	s_or_b32 s39, s39, exec_lo
	s_or_b32 s40, s40, exec_lo
	s_mov_b32 s41, exec_lo
                                        ; implicit-def: $vgpr24_vgpr25
	s_waitcnt vmcnt(0)
	v_subrev_nc_u32_e32 v21, s30, v21
	s_delay_alu instid0(VALU_DEP_1)
	v_cmpx_ne_u32_e64 v21, v15
	s_cbranch_execz .LBB61_31
; %bb.33:                               ;   in Loop: Header=BB61_32 Depth=3
	v_add_co_u32 v24, vcc_lo, v26, 1
	v_add_co_ci_u32_e32 v25, vcc_lo, 0, v27, vcc_lo
	v_add_co_u32 v11, s3, v11, 4
	s_delay_alu instid0(VALU_DEP_3) | instskip(SKIP_4) | instid1(SALU_CYCLE_1)
	v_cmp_ge_i32_e32 vcc_lo, v24, v36
	v_add_co_ci_u32_e64 v12, s3, 0, v12, s3
	s_and_not1_b32 s3, s40, exec_lo
	s_and_not1_b32 s39, s39, exec_lo
	s_and_b32 s40, vcc_lo, exec_lo
	s_or_b32 s40, s3, s40
	s_branch .LBB61_31
.LBB61_34:                              ;   in Loop: Header=BB61_9 Depth=2
	v_mov_b32_e32 v11, 0
	v_mov_b32_e32 v12, 0
	s_mov_b32 s36, exec_lo
	v_cmpx_neq_f64_e32 0, v[3:4]
	s_cbranch_execz .LBB61_36
; %bb.35:                               ;   in Loop: Header=BB61_9 Depth=2
	v_div_scale_f64 v[11:12], null, v[9:10], v[9:10], v[7:8]
	v_div_scale_f64 v[23:24], vcc_lo, v[7:8], v[9:10], v[7:8]
	s_delay_alu instid0(VALU_DEP_2) | instskip(SKIP_2) | instid1(VALU_DEP_1)
	v_rcp_f64_e32 v[19:20], v[11:12]
	s_waitcnt_depctr 0xfff
	v_fma_f64 v[21:22], -v[11:12], v[19:20], 1.0
	v_fma_f64 v[19:20], v[19:20], v[21:22], v[19:20]
	s_delay_alu instid0(VALU_DEP_1) | instskip(NEXT) | instid1(VALU_DEP_1)
	v_fma_f64 v[21:22], -v[11:12], v[19:20], 1.0
	v_fma_f64 v[19:20], v[19:20], v[21:22], v[19:20]
	s_delay_alu instid0(VALU_DEP_1) | instskip(NEXT) | instid1(VALU_DEP_1)
	v_mul_f64 v[21:22], v[23:24], v[19:20]
	v_fma_f64 v[11:12], -v[11:12], v[21:22], v[23:24]
	s_delay_alu instid0(VALU_DEP_1) | instskip(NEXT) | instid1(VALU_DEP_1)
	v_div_fmas_f64 v[11:12], v[11:12], v[19:20], v[21:22]
	v_div_fixup_f64 v[7:8], v[11:12], v[9:10], v[7:8]
	s_delay_alu instid0(VALU_DEP_1) | instskip(NEXT) | instid1(VALU_DEP_1)
	v_fma_f64 v[7:8], v[7:8], v[7:8], 1.0
	v_cmp_gt_f64_e32 vcc_lo, 0x10000000, v[7:8]
	v_cndmask_b32_e64 v11, 0, 1, vcc_lo
	s_delay_alu instid0(VALU_DEP_1) | instskip(NEXT) | instid1(VALU_DEP_1)
	v_lshlrev_b32_e32 v11, 8, v11
	v_ldexp_f64 v[7:8], v[7:8], v11
	s_delay_alu instid0(VALU_DEP_1) | instskip(SKIP_3) | instid1(VALU_DEP_1)
	v_rsq_f64_e32 v[11:12], v[7:8]
	s_waitcnt_depctr 0xfff
	v_mul_f64 v[19:20], v[7:8], v[11:12]
	v_mul_f64 v[11:12], v[11:12], 0.5
	v_fma_f64 v[21:22], -v[11:12], v[19:20], 0.5
	s_delay_alu instid0(VALU_DEP_1) | instskip(SKIP_1) | instid1(VALU_DEP_2)
	v_fma_f64 v[19:20], v[19:20], v[21:22], v[19:20]
	v_fma_f64 v[11:12], v[11:12], v[21:22], v[11:12]
	v_fma_f64 v[21:22], -v[19:20], v[19:20], v[7:8]
	s_delay_alu instid0(VALU_DEP_1) | instskip(NEXT) | instid1(VALU_DEP_1)
	v_fma_f64 v[19:20], v[21:22], v[11:12], v[19:20]
	v_fma_f64 v[21:22], -v[19:20], v[19:20], v[7:8]
	s_delay_alu instid0(VALU_DEP_1) | instskip(SKIP_2) | instid1(VALU_DEP_2)
	v_fma_f64 v[11:12], v[21:22], v[11:12], v[19:20]
	v_cndmask_b32_e64 v19, 0, 0xffffff80, vcc_lo
	v_cmp_class_f64_e64 vcc_lo, v[7:8], 0x260
	v_ldexp_f64 v[11:12], v[11:12], v19
	s_delay_alu instid0(VALU_DEP_1) | instskip(NEXT) | instid1(VALU_DEP_1)
	v_dual_cndmask_b32 v8, v12, v8 :: v_dual_cndmask_b32 v7, v11, v7
	v_mul_f64 v[11:12], v[9:10], v[7:8]
.LBB61_36:                              ;   in Loop: Header=BB61_9 Depth=2
	s_or_b32 exec_lo, exec_lo, s36
                                        ; implicit-def: $vgpr7_vgpr8
                                        ; implicit-def: $vgpr9_vgpr10
	s_and_not1_saveexec_b32 s3, s3
	s_cbranch_execz .LBB61_29
.LBB61_37:                              ;   in Loop: Header=BB61_9 Depth=2
	v_div_scale_f64 v[11:12], null, v[7:8], v[7:8], v[9:10]
	v_div_scale_f64 v[23:24], vcc_lo, v[9:10], v[7:8], v[9:10]
	s_delay_alu instid0(VALU_DEP_2) | instskip(SKIP_2) | instid1(VALU_DEP_1)
	v_rcp_f64_e32 v[19:20], v[11:12]
	s_waitcnt_depctr 0xfff
	v_fma_f64 v[21:22], -v[11:12], v[19:20], 1.0
	v_fma_f64 v[19:20], v[19:20], v[21:22], v[19:20]
	s_delay_alu instid0(VALU_DEP_1) | instskip(NEXT) | instid1(VALU_DEP_1)
	v_fma_f64 v[21:22], -v[11:12], v[19:20], 1.0
	v_fma_f64 v[19:20], v[19:20], v[21:22], v[19:20]
	s_delay_alu instid0(VALU_DEP_1) | instskip(NEXT) | instid1(VALU_DEP_1)
	v_mul_f64 v[21:22], v[23:24], v[19:20]
	v_fma_f64 v[11:12], -v[11:12], v[21:22], v[23:24]
	s_delay_alu instid0(VALU_DEP_1) | instskip(NEXT) | instid1(VALU_DEP_1)
	v_div_fmas_f64 v[11:12], v[11:12], v[19:20], v[21:22]
	v_div_fixup_f64 v[9:10], v[11:12], v[7:8], v[9:10]
	s_delay_alu instid0(VALU_DEP_1) | instskip(NEXT) | instid1(VALU_DEP_1)
	v_fma_f64 v[9:10], v[9:10], v[9:10], 1.0
	v_cmp_gt_f64_e32 vcc_lo, 0x10000000, v[9:10]
	v_cndmask_b32_e64 v11, 0, 1, vcc_lo
	s_delay_alu instid0(VALU_DEP_1) | instskip(NEXT) | instid1(VALU_DEP_1)
	v_lshlrev_b32_e32 v11, 8, v11
	v_ldexp_f64 v[9:10], v[9:10], v11
	s_delay_alu instid0(VALU_DEP_1) | instskip(SKIP_3) | instid1(VALU_DEP_1)
	v_rsq_f64_e32 v[11:12], v[9:10]
	s_waitcnt_depctr 0xfff
	v_mul_f64 v[19:20], v[9:10], v[11:12]
	v_mul_f64 v[11:12], v[11:12], 0.5
	v_fma_f64 v[21:22], -v[11:12], v[19:20], 0.5
	s_delay_alu instid0(VALU_DEP_1) | instskip(SKIP_1) | instid1(VALU_DEP_2)
	v_fma_f64 v[19:20], v[19:20], v[21:22], v[19:20]
	v_fma_f64 v[11:12], v[11:12], v[21:22], v[11:12]
	v_fma_f64 v[21:22], -v[19:20], v[19:20], v[9:10]
	s_delay_alu instid0(VALU_DEP_1) | instskip(NEXT) | instid1(VALU_DEP_1)
	v_fma_f64 v[19:20], v[21:22], v[11:12], v[19:20]
	v_fma_f64 v[21:22], -v[19:20], v[19:20], v[9:10]
	s_delay_alu instid0(VALU_DEP_1) | instskip(SKIP_2) | instid1(VALU_DEP_2)
	v_fma_f64 v[11:12], v[21:22], v[11:12], v[19:20]
	v_cndmask_b32_e64 v19, 0, 0xffffff80, vcc_lo
	v_cmp_class_f64_e64 vcc_lo, v[9:10], 0x260
	v_ldexp_f64 v[11:12], v[11:12], v19
	s_delay_alu instid0(VALU_DEP_1) | instskip(NEXT) | instid1(VALU_DEP_1)
	v_dual_cndmask_b32 v10, v12, v10 :: v_dual_cndmask_b32 v9, v11, v9
	v_mul_f64 v[11:12], v[7:8], v[9:10]
	s_or_b32 exec_lo, exec_lo, s3
	s_delay_alu instid0(VALU_DEP_1) | instskip(NEXT) | instid1(VALU_DEP_1)
	v_cmp_class_f64_e64 s36, v[11:12], 0x1f8
	s_and_saveexec_b32 s3, s36
	s_cbranch_execz .LBB61_8
.LBB61_38:                              ;   in Loop: Header=BB61_9 Depth=2
	v_add_co_u32 v7, vcc_lo, s10, v17
	v_add_co_ci_u32_e32 v8, vcc_lo, s11, v18, vcc_lo
	global_store_b128 v[7:8], v[1:4], off
	s_branch .LBB61_8
.LBB61_39:                              ;   in Loop: Header=BB61_9 Depth=2
	s_set_inst_prefetch_distance 0x2
	s_or_b32 exec_lo, exec_lo, s38
	s_and_saveexec_b32 s3, s37
	s_delay_alu instid0(SALU_CYCLE_1)
	s_xor_b32 s3, exec_lo, s3
	s_cbranch_execz .LBB61_41
; %bb.40:                               ;   in Loop: Header=BB61_9 Depth=2
	v_lshlrev_b64 v[11:12], 2, v[26:27]
	s_delay_alu instid0(VALU_DEP_1) | instskip(NEXT) | instid1(VALU_DEP_2)
	v_add_co_u32 v11, vcc_lo, s8, v11
	v_add_co_ci_u32_e32 v12, vcc_lo, s9, v12, vcc_lo
	global_load_b32 v11, v[11:12], off
	s_waitcnt vmcnt(0)
	v_ashrrev_i32_e32 v12, 31, v11
	s_delay_alu instid0(VALU_DEP_1) | instskip(NEXT) | instid1(VALU_DEP_1)
	v_lshlrev_b64 v[11:12], 4, v[11:12]
	v_add_co_u32 v11, vcc_lo, s10, v11
	s_delay_alu instid0(VALU_DEP_2)
	v_add_co_ci_u32_e32 v12, vcc_lo, s11, v12, vcc_lo
	global_load_b128 v[24:27], v[11:12], off
	s_waitcnt vmcnt(0)
	v_add_f64 v[22:23], v[22:23], v[24:25]
	v_add_f64 v[9:10], v[9:10], v[26:27]
.LBB61_41:                              ;   in Loop: Header=BB61_9 Depth=2
	s_or_b32 exec_lo, exec_lo, s3
	s_delay_alu instid0(SALU_CYCLE_1) | instskip(NEXT) | instid1(SALU_CYCLE_1)
	s_or_b32 exec_lo, exec_lo, s36
	s_mov_b32 s36, exec_lo
	v_cmpx_lt_i32_e64 v20, v33
	s_cbranch_execz .LBB61_19
.LBB61_42:                              ;   in Loop: Header=BB61_9 Depth=2
	v_ashrrev_i32_e32 v21, 31, v20
	s_mov_b32 s38, 0
                                        ; implicit-def: $sgpr37
                                        ; implicit-def: $sgpr40
                                        ; implicit-def: $sgpr39
	s_delay_alu instid0(VALU_DEP_1) | instskip(NEXT) | instid1(VALU_DEP_1)
	v_lshlrev_b64 v[11:12], 2, v[20:21]
	v_add_co_u32 v11, vcc_lo, s16, v11
	s_delay_alu instid0(VALU_DEP_2)
	v_add_co_ci_u32_e32 v12, vcc_lo, s17, v12, vcc_lo
	s_set_inst_prefetch_distance 0x1
	s_branch .LBB61_44
	.p2align	6
.LBB61_43:                              ;   in Loop: Header=BB61_44 Depth=3
	s_or_b32 exec_lo, exec_lo, s41
	s_delay_alu instid0(SALU_CYCLE_1) | instskip(NEXT) | instid1(SALU_CYCLE_1)
	s_and_b32 s3, exec_lo, s40
	s_or_b32 s38, s3, s38
	s_and_not1_b32 s3, s37, exec_lo
	s_and_b32 s37, s39, exec_lo
	s_delay_alu instid0(SALU_CYCLE_1)
	s_or_b32 s37, s3, s37
	s_and_not1_b32 exec_lo, exec_lo, s38
	s_cbranch_execz .LBB61_46
.LBB61_44:                              ;   Parent Loop BB61_5 Depth=1
                                        ;     Parent Loop BB61_9 Depth=2
                                        ; =>    This Inner Loop Header: Depth=3
	global_load_b32 v26, v[11:12], off
	v_dual_mov_b32 v25, v21 :: v_dual_mov_b32 v24, v20
	s_or_b32 s39, s39, exec_lo
	s_or_b32 s40, s40, exec_lo
	s_mov_b32 s41, exec_lo
                                        ; implicit-def: $vgpr20_vgpr21
	s_waitcnt vmcnt(0)
	v_cmpx_ne_u32_e64 v26, v35
	s_cbranch_execz .LBB61_43
; %bb.45:                               ;   in Loop: Header=BB61_44 Depth=3
	v_add_co_u32 v20, vcc_lo, v24, 1
	v_add_co_ci_u32_e32 v21, vcc_lo, 0, v25, vcc_lo
	v_add_co_u32 v11, s3, v11, 4
	s_delay_alu instid0(VALU_DEP_3) | instskip(SKIP_4) | instid1(SALU_CYCLE_1)
	v_cmp_ge_i32_e32 vcc_lo, v20, v33
	v_add_co_ci_u32_e64 v12, s3, 0, v12, s3
	s_and_not1_b32 s3, s40, exec_lo
	s_and_not1_b32 s39, s39, exec_lo
	s_and_b32 s40, vcc_lo, exec_lo
	s_or_b32 s40, s3, s40
	s_branch .LBB61_43
.LBB61_46:                              ;   in Loop: Header=BB61_9 Depth=2
	s_set_inst_prefetch_distance 0x2
	s_or_b32 exec_lo, exec_lo, s38
	s_and_saveexec_b32 s3, s37
	s_delay_alu instid0(SALU_CYCLE_1)
	s_xor_b32 s3, exec_lo, s3
	s_cbranch_execz .LBB61_48
; %bb.47:                               ;   in Loop: Header=BB61_9 Depth=2
	v_lshlrev_b64 v[11:12], 4, v[24:25]
	s_delay_alu instid0(VALU_DEP_1) | instskip(NEXT) | instid1(VALU_DEP_2)
	v_add_co_u32 v11, vcc_lo, s10, v11
	v_add_co_ci_u32_e32 v12, vcc_lo, s11, v12, vcc_lo
	global_load_b128 v[24:27], v[11:12], off
	s_waitcnt vmcnt(0)
	v_fma_f64 v[11:12], v[24:25], v[5:6], v[22:23]
	v_fma_f64 v[9:10], v[26:27], v[5:6], v[9:10]
	s_delay_alu instid0(VALU_DEP_2) | instskip(NEXT) | instid1(VALU_DEP_2)
	v_fma_f64 v[22:23], -v[26:27], v[7:8], v[11:12]
	v_fma_f64 v[9:10], v[24:25], v[7:8], v[9:10]
.LBB61_48:                              ;   in Loop: Header=BB61_9 Depth=2
	s_or_b32 exec_lo, exec_lo, s3
	s_delay_alu instid0(SALU_CYCLE_1) | instskip(NEXT) | instid1(SALU_CYCLE_1)
	s_or_b32 exec_lo, exec_lo, s36
	s_mov_b32 s3, exec_lo
	v_cmpx_eq_u32_e64 v15, v19
	s_cbranch_execnz .LBB61_20
	s_branch .LBB61_21
.LBB61_49:
	s_or_b32 exec_lo, exec_lo, s29
	v_mbcnt_lo_u32_b32 v5, -1, 0
	s_delay_alu instid0(VALU_DEP_1) | instskip(SKIP_2) | instid1(VALU_DEP_3)
	v_xor_b32_e32 v1, 16, v5
	v_xor_b32_e32 v3, 8, v5
	;; [unrolled: 1-line block ×3, first 2 shown]
	v_cmp_gt_i32_e32 vcc_lo, 32, v1
	s_delay_alu instid0(VALU_DEP_3) | instskip(SKIP_1) | instid1(VALU_DEP_2)
	v_cmp_gt_i32_e64 s2, 32, v3
	v_cndmask_b32_e32 v1, v5, v1, vcc_lo
	v_cndmask_b32_e64 v3, v5, v3, s2
	v_cmp_gt_i32_e64 s2, 32, v6
	s_delay_alu instid0(VALU_DEP_3) | instskip(NEXT) | instid1(VALU_DEP_2)
	v_lshlrev_b32_e32 v2, 2, v1
	v_cndmask_b32_e64 v6, v5, v6, s2
	ds_bpermute_b32 v1, v2, v13
	ds_bpermute_b32 v2, v2, v14
	v_lshlrev_b32_e32 v6, 2, v6
	s_waitcnt lgkmcnt(0)
	v_cmp_lt_f64_e32 vcc_lo, v[13:14], v[1:2]
	v_dual_cndmask_b32 v2, v14, v2 :: v_dual_lshlrev_b32 v3, 2, v3
	v_cndmask_b32_e32 v1, v13, v1, vcc_lo
	ds_bpermute_b32 v4, v3, v2
	ds_bpermute_b32 v3, v3, v1
	s_waitcnt lgkmcnt(0)
	v_cmp_lt_f64_e32 vcc_lo, v[1:2], v[3:4]
	v_dual_cndmask_b32 v2, v2, v4 :: v_dual_cndmask_b32 v1, v1, v3
	ds_bpermute_b32 v4, v6, v2
	ds_bpermute_b32 v3, v6, v1
	v_xor_b32_e32 v6, 2, v5
	s_delay_alu instid0(VALU_DEP_1) | instskip(NEXT) | instid1(VALU_DEP_1)
	v_cmp_gt_i32_e64 s2, 32, v6
	v_cndmask_b32_e64 v6, v5, v6, s2
	s_waitcnt lgkmcnt(0)
	v_cmp_lt_f64_e32 vcc_lo, v[1:2], v[3:4]
	s_delay_alu instid0(VALU_DEP_2) | instskip(SKIP_4) | instid1(VALU_DEP_1)
	v_dual_cndmask_b32 v1, v1, v3 :: v_dual_lshlrev_b32 v6, 2, v6
	v_cndmask_b32_e32 v2, v2, v4, vcc_lo
	ds_bpermute_b32 v3, v6, v1
	ds_bpermute_b32 v4, v6, v2
	v_xor_b32_e32 v6, 1, v5
	v_cmp_gt_i32_e64 s2, 32, v6
	s_delay_alu instid0(VALU_DEP_1) | instskip(SKIP_1) | instid1(VALU_DEP_1)
	v_cndmask_b32_e64 v5, v5, v6, s2
	s_mov_b32 s2, exec_lo
	v_lshlrev_b32_e32 v5, 2, v5
	s_waitcnt lgkmcnt(0)
	v_cmp_lt_f64_e32 vcc_lo, v[1:2], v[3:4]
	v_dual_cndmask_b32 v2, v2, v4 :: v_dual_cndmask_b32 v1, v1, v3
	ds_bpermute_b32 v4, v5, v2
	ds_bpermute_b32 v3, v5, v1
	v_cmpx_eq_u32_e32 31, v29
	s_cbranch_execz .LBB61_51
; %bb.50:
	s_waitcnt lgkmcnt(0)
	v_cmp_lt_f64_e32 vcc_lo, v[1:2], v[3:4]
	v_lshlrev_b32_e32 v5, 3, v28
	v_dual_cndmask_b32 v2, v2, v4 :: v_dual_cndmask_b32 v1, v1, v3
	ds_store_b64 v5, v[1:2]
.LBB61_51:
	s_or_b32 exec_lo, exec_lo, s2
	v_lshlrev_b32_e32 v1, 3, v0
	s_mov_b32 s2, exec_lo
	s_waitcnt lgkmcnt(0)
	s_waitcnt_vscnt null, 0x0
	s_barrier
	buffer_gl0_inv
	v_cmpx_gt_u32_e32 16, v0
	s_cbranch_execz .LBB61_53
; %bb.52:
	ds_load_2addr_b64 v[2:5], v1 offset1:16
	s_waitcnt lgkmcnt(0)
	v_cmp_lt_f64_e32 vcc_lo, v[2:3], v[4:5]
	v_dual_cndmask_b32 v3, v3, v5 :: v_dual_cndmask_b32 v2, v2, v4
	ds_store_b64 v1, v[2:3]
.LBB61_53:
	s_or_b32 exec_lo, exec_lo, s2
	s_delay_alu instid0(SALU_CYCLE_1)
	s_mov_b32 s2, exec_lo
	s_waitcnt lgkmcnt(0)
	s_barrier
	buffer_gl0_inv
	v_cmpx_gt_u32_e32 8, v0
	s_cbranch_execz .LBB61_55
; %bb.54:
	ds_load_2addr_b64 v[2:5], v1 offset1:8
	s_waitcnt lgkmcnt(0)
	v_cmp_lt_f64_e32 vcc_lo, v[2:3], v[4:5]
	v_dual_cndmask_b32 v3, v3, v5 :: v_dual_cndmask_b32 v2, v2, v4
	ds_store_b64 v1, v[2:3]
.LBB61_55:
	s_or_b32 exec_lo, exec_lo, s2
	s_delay_alu instid0(SALU_CYCLE_1)
	s_mov_b32 s2, exec_lo
	s_waitcnt lgkmcnt(0)
	s_barrier
	buffer_gl0_inv
	v_cmpx_gt_u32_e32 4, v0
	s_cbranch_execz .LBB61_57
; %bb.56:
	ds_load_2addr_b64 v[2:5], v1 offset1:4
	s_waitcnt lgkmcnt(0)
	v_cmp_lt_f64_e32 vcc_lo, v[2:3], v[4:5]
	v_dual_cndmask_b32 v3, v3, v5 :: v_dual_cndmask_b32 v2, v2, v4
	ds_store_b64 v1, v[2:3]
.LBB61_57:
	s_or_b32 exec_lo, exec_lo, s2
	s_delay_alu instid0(SALU_CYCLE_1)
	s_mov_b32 s2, exec_lo
	s_waitcnt lgkmcnt(0)
	s_barrier
	buffer_gl0_inv
	v_cmpx_gt_u32_e32 2, v0
	s_cbranch_execz .LBB61_59
; %bb.58:
	ds_load_2addr_b64 v[2:5], v1 offset1:2
	s_waitcnt lgkmcnt(0)
	v_cmp_lt_f64_e32 vcc_lo, v[2:3], v[4:5]
	v_dual_cndmask_b32 v3, v3, v5 :: v_dual_cndmask_b32 v2, v2, v4
	ds_store_b64 v1, v[2:3]
.LBB61_59:
	s_or_b32 exec_lo, exec_lo, s2
	v_cmp_eq_u32_e32 vcc_lo, 0, v0
	s_waitcnt lgkmcnt(0)
	s_barrier
	buffer_gl0_inv
	s_and_saveexec_b32 s3, vcc_lo
	s_cbranch_execz .LBB61_61
; %bb.60:
	v_mov_b32_e32 v4, 0
	ds_load_b128 v[0:3], v4
	s_waitcnt lgkmcnt(0)
	v_cmp_lt_f64_e64 s2, v[0:1], v[2:3]
	s_delay_alu instid0(VALU_DEP_1)
	v_cndmask_b32_e64 v1, v1, v3, s2
	v_cndmask_b32_e64 v0, v0, v2, s2
	ds_store_b64 v4, v[0:1]
.LBB61_61:
	s_or_b32 exec_lo, exec_lo, s3
	s_waitcnt lgkmcnt(0)
	s_barrier
	buffer_gl0_inv
	s_and_saveexec_b32 s2, vcc_lo
	s_cbranch_execz .LBB61_66
; %bb.62:
	s_load_b128 s[4:7], s[0:1], 0x70
	v_mov_b32_e32 v4, 0
	s_brev_b32 s3, 1
	s_mov_b32 s2, 0
	ds_load_b64 v[0:1], v4
	s_waitcnt lgkmcnt(0)
	s_load_b64 s[0:1], s[6:7], 0x0
	global_load_b64 v[2:3], v4, s[4:5] glc
	s_waitcnt lgkmcnt(0)
	v_div_scale_f64 v[5:6], null, s[0:1], s[0:1], v[0:1]
	s_delay_alu instid0(VALU_DEP_1) | instskip(SKIP_2) | instid1(VALU_DEP_1)
	v_rcp_f64_e32 v[7:8], v[5:6]
	s_waitcnt_depctr 0xfff
	v_fma_f64 v[9:10], -v[5:6], v[7:8], 1.0
	v_fma_f64 v[7:8], v[7:8], v[9:10], v[7:8]
	s_delay_alu instid0(VALU_DEP_1) | instskip(NEXT) | instid1(VALU_DEP_1)
	v_fma_f64 v[9:10], -v[5:6], v[7:8], 1.0
	v_fma_f64 v[7:8], v[7:8], v[9:10], v[7:8]
	v_div_scale_f64 v[9:10], vcc_lo, v[0:1], s[0:1], v[0:1]
	s_delay_alu instid0(VALU_DEP_1) | instskip(NEXT) | instid1(VALU_DEP_1)
	v_mul_f64 v[11:12], v[9:10], v[7:8]
	v_fma_f64 v[5:6], -v[5:6], v[11:12], v[9:10]
	s_waitcnt vmcnt(0)
	v_cmp_eq_u64_e64 s6, s[2:3], v[2:3]
                                        ; implicit-def: $sgpr3
	s_delay_alu instid0(VALU_DEP_2) | instskip(NEXT) | instid1(VALU_DEP_1)
	v_div_fmas_f64 v[5:6], v[5:6], v[7:8], v[11:12]
	v_div_fixup_f64 v[0:1], v[5:6], s[0:1], v[0:1]
                                        ; implicit-def: $sgpr1
	s_delay_alu instid0(VALU_DEP_1)
	v_cmp_eq_f64_e32 vcc_lo, 0, v[0:1]
	s_set_inst_prefetch_distance 0x1
	s_branch .LBB61_64
	.p2align	6
.LBB61_63:                              ;   in Loop: Header=BB61_64 Depth=1
	s_or_b32 exec_lo, exec_lo, s7
	s_delay_alu instid0(SALU_CYCLE_1) | instskip(NEXT) | instid1(SALU_CYCLE_1)
	s_and_b32 s0, exec_lo, s1
	s_or_b32 s2, s0, s2
	s_and_not1_b32 s0, s6, exec_lo
	s_and_b32 s6, s3, exec_lo
	s_delay_alu instid0(SALU_CYCLE_1)
	s_or_b32 s6, s0, s6
	s_and_not1_b32 exec_lo, exec_lo, s2
	s_cbranch_execz .LBB61_66
.LBB61_64:                              ; =>This Inner Loop Header: Depth=1
	v_cmp_lt_f64_e64 s0, v[2:3], v[0:1]
	s_and_b32 s7, vcc_lo, s6
	s_and_not1_b32 s3, s3, exec_lo
	s_or_b32 s1, s1, exec_lo
	s_delay_alu instid0(VALU_DEP_1) | instskip(NEXT) | instid1(SALU_CYCLE_1)
	s_or_b32 s0, s0, s7
	s_and_saveexec_b32 s7, s0
	s_cbranch_execz .LBB61_63
; %bb.65:                               ;   in Loop: Header=BB61_64 Depth=1
	global_atomic_cmpswap_b64 v[5:6], v4, v[0:3], s[4:5] glc
	s_and_not1_b32 s3, s3, exec_lo
	s_and_not1_b32 s1, s1, exec_lo
	s_waitcnt vmcnt(0)
	v_cmp_eq_u64_e64 s0, v[5:6], v[2:3]
	s_delay_alu instid0(VALU_DEP_1) | instskip(SKIP_2) | instid1(SALU_CYCLE_1)
	v_cndmask_b32_e64 v3, v6, v3, s0
	v_cndmask_b32_e64 v2, v5, v2, s0
	s_and_b32 s0, s0, exec_lo
	s_or_b32 s1, s1, s0
	s_delay_alu instid0(VALU_DEP_1) | instskip(SKIP_1) | instid1(VALU_DEP_2)
	v_cmp_class_f64_e64 s6, v[2:3], 32
	v_dual_mov_b32 v2, v5 :: v_dual_mov_b32 v3, v6
	s_and_b32 s6, s6, exec_lo
	s_delay_alu instid0(SALU_CYCLE_1)
	s_or_b32 s3, s3, s6
                                        ; implicit-def: $sgpr6
	s_branch .LBB61_63
.LBB61_66:
	s_set_inst_prefetch_distance 0x2
	s_endpgm
	.section	.rodata,"a",@progbits
	.p2align	6, 0x0
	.amdhsa_kernel _ZN9rocsparseL16kernel_calculateILi1024ELi32ELb1E21rocsparse_complex_numIdEiiEEvT4_T3_PKS4_S6_PKS3_PKT2_21rocsparse_index_base_S6_S6_S8_S6_S6_S8_S6_PS9_PNS_15floating_traitsIS9_E6data_tEPKSG_
		.amdhsa_group_segment_fixed_size 256
		.amdhsa_private_segment_fixed_size 0
		.amdhsa_kernarg_size 128
		.amdhsa_user_sgpr_count 15
		.amdhsa_user_sgpr_dispatch_ptr 0
		.amdhsa_user_sgpr_queue_ptr 0
		.amdhsa_user_sgpr_kernarg_segment_ptr 1
		.amdhsa_user_sgpr_dispatch_id 0
		.amdhsa_user_sgpr_private_segment_size 0
		.amdhsa_wavefront_size32 1
		.amdhsa_uses_dynamic_stack 0
		.amdhsa_enable_private_segment 0
		.amdhsa_system_sgpr_workgroup_id_x 1
		.amdhsa_system_sgpr_workgroup_id_y 0
		.amdhsa_system_sgpr_workgroup_id_z 0
		.amdhsa_system_sgpr_workgroup_info 0
		.amdhsa_system_vgpr_workitem_id 0
		.amdhsa_next_free_vgpr 47
		.amdhsa_next_free_sgpr 42
		.amdhsa_reserve_vcc 1
		.amdhsa_float_round_mode_32 0
		.amdhsa_float_round_mode_16_64 0
		.amdhsa_float_denorm_mode_32 3
		.amdhsa_float_denorm_mode_16_64 3
		.amdhsa_dx10_clamp 1
		.amdhsa_ieee_mode 1
		.amdhsa_fp16_overflow 0
		.amdhsa_workgroup_processor_mode 1
		.amdhsa_memory_ordered 1
		.amdhsa_forward_progress 0
		.amdhsa_shared_vgpr_count 0
		.amdhsa_exception_fp_ieee_invalid_op 0
		.amdhsa_exception_fp_denorm_src 0
		.amdhsa_exception_fp_ieee_div_zero 0
		.amdhsa_exception_fp_ieee_overflow 0
		.amdhsa_exception_fp_ieee_underflow 0
		.amdhsa_exception_fp_ieee_inexact 0
		.amdhsa_exception_int_div_zero 0
	.end_amdhsa_kernel
	.section	.text._ZN9rocsparseL16kernel_calculateILi1024ELi32ELb1E21rocsparse_complex_numIdEiiEEvT4_T3_PKS4_S6_PKS3_PKT2_21rocsparse_index_base_S6_S6_S8_S6_S6_S8_S6_PS9_PNS_15floating_traitsIS9_E6data_tEPKSG_,"axG",@progbits,_ZN9rocsparseL16kernel_calculateILi1024ELi32ELb1E21rocsparse_complex_numIdEiiEEvT4_T3_PKS4_S6_PKS3_PKT2_21rocsparse_index_base_S6_S6_S8_S6_S6_S8_S6_PS9_PNS_15floating_traitsIS9_E6data_tEPKSG_,comdat
.Lfunc_end61:
	.size	_ZN9rocsparseL16kernel_calculateILi1024ELi32ELb1E21rocsparse_complex_numIdEiiEEvT4_T3_PKS4_S6_PKS3_PKT2_21rocsparse_index_base_S6_S6_S8_S6_S6_S8_S6_PS9_PNS_15floating_traitsIS9_E6data_tEPKSG_, .Lfunc_end61-_ZN9rocsparseL16kernel_calculateILi1024ELi32ELb1E21rocsparse_complex_numIdEiiEEvT4_T3_PKS4_S6_PKS3_PKT2_21rocsparse_index_base_S6_S6_S8_S6_S6_S8_S6_PS9_PNS_15floating_traitsIS9_E6data_tEPKSG_
                                        ; -- End function
	.section	.AMDGPU.csdata,"",@progbits
; Kernel info:
; codeLenInByte = 4584
; NumSgprs: 44
; NumVgprs: 47
; ScratchSize: 0
; MemoryBound: 1
; FloatMode: 240
; IeeeMode: 1
; LDSByteSize: 256 bytes/workgroup (compile time only)
; SGPRBlocks: 5
; VGPRBlocks: 5
; NumSGPRsForWavesPerEU: 44
; NumVGPRsForWavesPerEU: 47
; Occupancy: 16
; WaveLimiterHint : 1
; COMPUTE_PGM_RSRC2:SCRATCH_EN: 0
; COMPUTE_PGM_RSRC2:USER_SGPR: 15
; COMPUTE_PGM_RSRC2:TRAP_HANDLER: 0
; COMPUTE_PGM_RSRC2:TGID_X_EN: 1
; COMPUTE_PGM_RSRC2:TGID_Y_EN: 0
; COMPUTE_PGM_RSRC2:TGID_Z_EN: 0
; COMPUTE_PGM_RSRC2:TIDIG_COMP_CNT: 0
	.section	.text._ZN9rocsparseL16kernel_calculateILi1024ELi64ELb1E21rocsparse_complex_numIdEiiEEvT4_T3_PKS4_S6_PKS3_PKT2_21rocsparse_index_base_S6_S6_S8_S6_S6_S8_S6_PS9_PNS_15floating_traitsIS9_E6data_tEPKSG_,"axG",@progbits,_ZN9rocsparseL16kernel_calculateILi1024ELi64ELb1E21rocsparse_complex_numIdEiiEEvT4_T3_PKS4_S6_PKS3_PKT2_21rocsparse_index_base_S6_S6_S8_S6_S6_S8_S6_PS9_PNS_15floating_traitsIS9_E6data_tEPKSG_,comdat
	.globl	_ZN9rocsparseL16kernel_calculateILi1024ELi64ELb1E21rocsparse_complex_numIdEiiEEvT4_T3_PKS4_S6_PKS3_PKT2_21rocsparse_index_base_S6_S6_S8_S6_S6_S8_S6_PS9_PNS_15floating_traitsIS9_E6data_tEPKSG_ ; -- Begin function _ZN9rocsparseL16kernel_calculateILi1024ELi64ELb1E21rocsparse_complex_numIdEiiEEvT4_T3_PKS4_S6_PKS3_PKT2_21rocsparse_index_base_S6_S6_S8_S6_S6_S8_S6_PS9_PNS_15floating_traitsIS9_E6data_tEPKSG_
	.p2align	8
	.type	_ZN9rocsparseL16kernel_calculateILi1024ELi64ELb1E21rocsparse_complex_numIdEiiEEvT4_T3_PKS4_S6_PKS3_PKT2_21rocsparse_index_base_S6_S6_S8_S6_S6_S8_S6_PS9_PNS_15floating_traitsIS9_E6data_tEPKSG_,@function
_ZN9rocsparseL16kernel_calculateILi1024ELi64ELb1E21rocsparse_complex_numIdEiiEEvT4_T3_PKS4_S6_PKS3_PKT2_21rocsparse_index_base_S6_S6_S8_S6_S6_S8_S6_PS9_PNS_15floating_traitsIS9_E6data_tEPKSG_: ; @_ZN9rocsparseL16kernel_calculateILi1024ELi64ELb1E21rocsparse_complex_numIdEiiEEvT4_T3_PKS4_S6_PKS3_PKT2_21rocsparse_index_base_S6_S6_S8_S6_S6_S8_S6_PS9_PNS_15floating_traitsIS9_E6data_tEPKSG_
; %bb.0:
	s_load_b32 s28, s[0:1], 0x0
	v_lshrrev_b32_e32 v28, 6, v0
	v_mov_b32_e32 v13, 0
	v_dual_mov_b32 v14, 0 :: v_dual_and_b32 v29, 63, v0
	s_mov_b32 s29, exec_lo
	s_delay_alu instid0(VALU_DEP_3) | instskip(SKIP_1) | instid1(VALU_DEP_1)
	v_lshl_or_b32 v30, s15, 10, v28
	s_waitcnt lgkmcnt(0)
	v_cmpx_gt_i32_e64 s28, v30
	s_cbranch_execz .LBB62_49
; %bb.1:
	s_clause 0x3
	s_load_b32 s30, s[0:1], 0x28
	s_load_b256 s[4:11], s[0:1], 0x50
	s_load_b256 s[12:19], s[0:1], 0x30
	;; [unrolled: 1-line block ×3, first 2 shown]
	v_mov_b32_e32 v13, 0
	v_mov_b32_e32 v14, 0
	s_mov_b32 s31, 0
	s_waitcnt lgkmcnt(0)
	v_subrev_nc_u32_e32 v31, s30, v29
	s_branch .LBB62_5
.LBB62_2:                               ;   in Loop: Header=BB62_5 Depth=1
	s_or_b32 exec_lo, exec_lo, s35
.LBB62_3:                               ;   in Loop: Header=BB62_5 Depth=1
	s_delay_alu instid0(SALU_CYCLE_1)
	s_or_b32 exec_lo, exec_lo, s34
.LBB62_4:                               ;   in Loop: Header=BB62_5 Depth=1
	s_delay_alu instid0(SALU_CYCLE_1) | instskip(SKIP_1) | instid1(SALU_CYCLE_1)
	s_or_b32 exec_lo, exec_lo, s33
	s_add_i32 s31, s31, 1
	s_cmp_lg_u32 s31, 64
	s_cbranch_scc0 .LBB62_49
.LBB62_5:                               ; =>This Loop Header: Depth=1
                                        ;     Child Loop BB62_9 Depth 2
                                        ;       Child Loop BB62_12 Depth 3
                                        ;       Child Loop BB62_32 Depth 3
                                        ;       Child Loop BB62_44 Depth 3
	v_lshl_add_u32 v15, s31, 4, v30
	s_mov_b32 s33, exec_lo
	s_delay_alu instid0(VALU_DEP_1)
	v_cmpx_gt_i32_e64 s28, v15
	s_cbranch_execz .LBB62_4
; %bb.6:                                ;   in Loop: Header=BB62_5 Depth=1
	v_ashrrev_i32_e32 v16, 31, v15
	s_mov_b32 s34, exec_lo
	s_delay_alu instid0(VALU_DEP_1) | instskip(NEXT) | instid1(VALU_DEP_1)
	v_lshlrev_b64 v[1:2], 2, v[15:16]
	v_add_co_u32 v3, vcc_lo, s22, v1
	s_delay_alu instid0(VALU_DEP_2)
	v_add_co_ci_u32_e32 v4, vcc_lo, s23, v2, vcc_lo
	v_add_co_u32 v5, vcc_lo, s20, v1
	v_add_co_ci_u32_e32 v6, vcc_lo, s21, v2, vcc_lo
	global_load_b32 v3, v[3:4], off
	global_load_b32 v4, v[5:6], off
	s_waitcnt vmcnt(1)
	v_subrev_nc_u32_e32 v32, s30, v3
	s_waitcnt vmcnt(0)
	v_add_nc_u32_e32 v16, v31, v4
	s_delay_alu instid0(VALU_DEP_1)
	v_cmpx_lt_i32_e64 v16, v32
	s_cbranch_execz .LBB62_3
; %bb.7:                                ;   in Loop: Header=BB62_5 Depth=1
	v_add_co_u32 v3, vcc_lo, s14, v1
	v_add_co_ci_u32_e32 v4, vcc_lo, s15, v2, vcc_lo
	v_add_co_u32 v1, vcc_lo, s12, v1
	v_add_co_ci_u32_e32 v2, vcc_lo, s13, v2, vcc_lo
	s_mov_b32 s35, 0
	global_load_b32 v3, v[3:4], off
	global_load_b32 v1, v[1:2], off
	s_waitcnt vmcnt(1)
	v_subrev_nc_u32_e32 v33, s30, v3
	s_waitcnt vmcnt(0)
	v_subrev_nc_u32_e32 v34, s30, v1
	v_cmp_lt_i32_e64 s2, v1, v3
	s_branch .LBB62_9
.LBB62_8:                               ;   in Loop: Header=BB62_9 Depth=2
	s_or_b32 exec_lo, exec_lo, s3
	v_cmp_nlg_f64_e64 s36, 0x7ff00000, |v[5:6]|
	v_cmp_gt_f64_e32 vcc_lo, v[13:14], v[5:6]
	s_delay_alu instid0(VALU_DEP_2) | instskip(SKIP_2) | instid1(VALU_DEP_2)
	s_or_b32 vcc_lo, s36, vcc_lo
	v_dual_cndmask_b32 v13, v5, v13 :: v_dual_add_nc_u32 v16, 64, v16
	v_cndmask_b32_e32 v14, v6, v14, vcc_lo
	v_cmp_ge_i32_e64 s3, v16, v32
	s_delay_alu instid0(VALU_DEP_1) | instskip(NEXT) | instid1(SALU_CYCLE_1)
	s_or_b32 s35, s3, s35
	s_and_not1_b32 exec_lo, exec_lo, s35
	s_cbranch_execz .LBB62_2
.LBB62_9:                               ;   Parent Loop BB62_5 Depth=1
                                        ; =>  This Loop Header: Depth=2
                                        ;       Child Loop BB62_12 Depth 3
                                        ;       Child Loop BB62_32 Depth 3
	;; [unrolled: 1-line block ×3, first 2 shown]
	v_ashrrev_i32_e32 v17, 31, v16
	v_mov_b32_e32 v22, 0
	v_mov_b32_e32 v23, 0
	s_delay_alu instid0(VALU_DEP_3) | instskip(SKIP_1) | instid1(VALU_DEP_2)
	v_lshlrev_b64 v[1:2], 2, v[16:17]
	v_lshlrev_b64 v[17:18], 4, v[16:17]
	v_add_co_u32 v1, vcc_lo, s24, v1
	s_delay_alu instid0(VALU_DEP_3) | instskip(SKIP_3) | instid1(VALU_DEP_1)
	v_add_co_ci_u32_e32 v2, vcc_lo, s25, v2, vcc_lo
	global_load_b32 v35, v[1:2], off
	s_waitcnt vmcnt(0)
	v_subrev_nc_u32_e32 v19, s30, v35
	v_ashrrev_i32_e32 v20, 31, v19
	s_delay_alu instid0(VALU_DEP_1) | instskip(NEXT) | instid1(VALU_DEP_1)
	v_lshlrev_b64 v[1:2], 2, v[19:20]
	v_add_co_u32 v3, vcc_lo, s14, v1
	s_delay_alu instid0(VALU_DEP_2)
	v_add_co_ci_u32_e32 v4, vcc_lo, s15, v2, vcc_lo
	v_add_co_u32 v5, vcc_lo, s4, v1
	v_add_co_ci_u32_e32 v6, vcc_lo, s5, v2, vcc_lo
	global_load_b32 v3, v[3:4], off
	v_add_co_u32 v1, vcc_lo, s18, v1
	v_add_co_ci_u32_e32 v2, vcc_lo, s19, v2, vcc_lo
	v_add_co_u32 v7, vcc_lo, s26, v17
	v_add_co_ci_u32_e32 v8, vcc_lo, s27, v18, vcc_lo
	global_load_b32 v20, v[5:6], off
	global_load_b32 v21, v[1:2], off
	s_waitcnt vmcnt(2)
	v_subrev_nc_u32_e32 v3, s30, v3
	s_delay_alu instid0(VALU_DEP_1)
	v_ashrrev_i32_e32 v4, 31, v3
	s_waitcnt vmcnt(1)
	v_subrev_nc_u32_e32 v36, s30, v20
	s_waitcnt vmcnt(0)
	v_subrev_nc_u32_e32 v24, s30, v21
	v_lshlrev_b64 v[3:4], 4, v[3:4]
	s_delay_alu instid0(VALU_DEP_1) | instskip(NEXT) | instid1(VALU_DEP_2)
	v_add_co_u32 v1, vcc_lo, s10, v3
	v_add_co_ci_u32_e32 v2, vcc_lo, s11, v4, vcc_lo
	v_cmp_lt_i32_e32 vcc_lo, v21, v20
	v_mov_b32_e32 v20, v34
	global_load_b128 v[9:12], v[7:8], off
	global_load_b128 v[5:8], v[1:2], off
	v_dual_mov_b32 v27, v23 :: v_dual_mov_b32 v26, v22
	s_and_b32 s3, s2, vcc_lo
	s_delay_alu instid0(SALU_CYCLE_1)
	s_and_saveexec_b32 s36, s3
	s_cbranch_execz .LBB62_15
; %bb.10:                               ;   in Loop: Header=BB62_9 Depth=2
	v_mov_b32_e32 v22, 0
	v_dual_mov_b32 v23, 0 :: v_dual_mov_b32 v20, v34
	s_mov_b32 s37, 0
	s_delay_alu instid0(VALU_DEP_1)
	v_dual_mov_b32 v27, v23 :: v_dual_mov_b32 v26, v22
	s_branch .LBB62_12
.LBB62_11:                              ;   in Loop: Header=BB62_12 Depth=3
	s_or_b32 exec_lo, exec_lo, s3
	v_cmp_le_i32_e32 vcc_lo, v3, v4
	v_add_co_ci_u32_e32 v20, vcc_lo, 0, v20, vcc_lo
	v_cmp_ge_i32_e32 vcc_lo, v3, v4
	v_add_co_ci_u32_e32 v24, vcc_lo, 0, v24, vcc_lo
	s_delay_alu instid0(VALU_DEP_3) | instskip(NEXT) | instid1(VALU_DEP_2)
	v_cmp_ge_i32_e32 vcc_lo, v20, v33
	v_cmp_ge_i32_e64 s3, v24, v36
	s_delay_alu instid0(VALU_DEP_1) | instskip(NEXT) | instid1(SALU_CYCLE_1)
	s_or_b32 s3, vcc_lo, s3
	s_and_b32 s3, exec_lo, s3
	s_delay_alu instid0(SALU_CYCLE_1) | instskip(NEXT) | instid1(SALU_CYCLE_1)
	s_or_b32 s37, s3, s37
	s_and_not1_b32 exec_lo, exec_lo, s37
	s_cbranch_execz .LBB62_14
.LBB62_12:                              ;   Parent Loop BB62_5 Depth=1
                                        ;     Parent Loop BB62_9 Depth=2
                                        ; =>    This Inner Loop Header: Depth=3
	s_delay_alu instid0(VALU_DEP_2) | instskip(SKIP_2) | instid1(VALU_DEP_2)
	v_ashrrev_i32_e32 v21, 31, v20
	v_ashrrev_i32_e32 v25, 31, v24
	s_mov_b32 s3, exec_lo
	v_lshlrev_b64 v[3:4], 2, v[20:21]
	s_delay_alu instid0(VALU_DEP_2) | instskip(NEXT) | instid1(VALU_DEP_2)
	v_lshlrev_b64 v[1:2], 2, v[24:25]
	v_add_co_u32 v3, vcc_lo, s16, v3
	s_delay_alu instid0(VALU_DEP_3) | instskip(NEXT) | instid1(VALU_DEP_3)
	v_add_co_ci_u32_e32 v4, vcc_lo, s17, v4, vcc_lo
	v_add_co_u32 v37, vcc_lo, s6, v1
	s_delay_alu instid0(VALU_DEP_4)
	v_add_co_ci_u32_e32 v38, vcc_lo, s7, v2, vcc_lo
	global_load_b32 v3, v[3:4], off
	global_load_b32 v4, v[37:38], off
	s_waitcnt vmcnt(0)
	v_cmpx_eq_u32_e64 v3, v4
	s_cbranch_execz .LBB62_11
; %bb.13:                               ;   in Loop: Header=BB62_12 Depth=3
	v_add_co_u32 v1, vcc_lo, s8, v1
	v_add_co_ci_u32_e32 v2, vcc_lo, s9, v2, vcc_lo
	v_lshlrev_b64 v[37:38], 4, v[20:21]
	global_load_b32 v1, v[1:2], off
	v_add_co_u32 v37, vcc_lo, s10, v37
	v_add_co_ci_u32_e32 v38, vcc_lo, s11, v38, vcc_lo
	s_waitcnt vmcnt(0)
	v_ashrrev_i32_e32 v2, 31, v1
	s_delay_alu instid0(VALU_DEP_1) | instskip(NEXT) | instid1(VALU_DEP_1)
	v_lshlrev_b64 v[1:2], 4, v[1:2]
	v_add_co_u32 v1, vcc_lo, s10, v1
	s_delay_alu instid0(VALU_DEP_2)
	v_add_co_ci_u32_e32 v2, vcc_lo, s11, v2, vcc_lo
	s_clause 0x1
	global_load_b128 v[37:40], v[37:38], off
	global_load_b128 v[41:44], v[1:2], off
	s_waitcnt vmcnt(0)
	v_fma_f64 v[1:2], v[37:38], v[41:42], v[22:23]
	v_fma_f64 v[25:26], v[39:40], v[41:42], v[26:27]
	s_delay_alu instid0(VALU_DEP_2) | instskip(NEXT) | instid1(VALU_DEP_2)
	v_fma_f64 v[22:23], -v[39:40], v[43:44], v[1:2]
	v_fma_f64 v[26:27], v[37:38], v[43:44], v[25:26]
	s_branch .LBB62_11
.LBB62_14:                              ;   in Loop: Header=BB62_9 Depth=2
	s_or_b32 exec_lo, exec_lo, s37
.LBB62_15:                              ;   in Loop: Header=BB62_9 Depth=2
	s_delay_alu instid0(SALU_CYCLE_1)
	s_or_b32 exec_lo, exec_lo, s36
	s_waitcnt vmcnt(1)
	v_add_f64 v[1:2], v[9:10], -v[22:23]
	v_add_f64 v[3:4], v[11:12], -v[26:27]
	s_mov_b32 s3, exec_lo
	v_cmpx_gt_i32_e64 v15, v19
	s_cbranch_execz .LBB62_17
; %bb.16:                               ;   in Loop: Header=BB62_9 Depth=2
	s_waitcnt vmcnt(0)
	v_mul_f64 v[37:38], v[7:8], v[7:8]
	s_delay_alu instid0(VALU_DEP_1) | instskip(NEXT) | instid1(VALU_DEP_1)
	v_fma_f64 v[37:38], v[5:6], v[5:6], v[37:38]
	v_div_scale_f64 v[39:40], null, v[37:38], v[37:38], 1.0
	v_div_scale_f64 v[45:46], vcc_lo, 1.0, v[37:38], 1.0
	s_delay_alu instid0(VALU_DEP_2) | instskip(SKIP_2) | instid1(VALU_DEP_1)
	v_rcp_f64_e32 v[41:42], v[39:40]
	s_waitcnt_depctr 0xfff
	v_fma_f64 v[43:44], -v[39:40], v[41:42], 1.0
	v_fma_f64 v[41:42], v[41:42], v[43:44], v[41:42]
	s_delay_alu instid0(VALU_DEP_1) | instskip(NEXT) | instid1(VALU_DEP_1)
	v_fma_f64 v[43:44], -v[39:40], v[41:42], 1.0
	v_fma_f64 v[41:42], v[41:42], v[43:44], v[41:42]
	s_delay_alu instid0(VALU_DEP_1) | instskip(NEXT) | instid1(VALU_DEP_1)
	v_mul_f64 v[43:44], v[45:46], v[41:42]
	v_fma_f64 v[39:40], -v[39:40], v[43:44], v[45:46]
	s_delay_alu instid0(VALU_DEP_1) | instskip(SKIP_2) | instid1(VALU_DEP_3)
	v_div_fmas_f64 v[39:40], v[39:40], v[41:42], v[43:44]
	v_mul_f64 v[41:42], v[7:8], v[3:4]
	v_mul_f64 v[43:44], v[7:8], -v[1:2]
	v_div_fixup_f64 v[37:38], v[39:40], v[37:38], 1.0
	s_delay_alu instid0(VALU_DEP_3) | instskip(NEXT) | instid1(VALU_DEP_3)
	v_fma_f64 v[1:2], v[1:2], v[5:6], v[41:42]
	v_fma_f64 v[3:4], v[3:4], v[5:6], v[43:44]
	s_delay_alu instid0(VALU_DEP_2) | instskip(NEXT) | instid1(VALU_DEP_2)
	v_mul_f64 v[1:2], v[37:38], v[1:2]
	v_mul_f64 v[3:4], v[37:38], v[3:4]
.LBB62_17:                              ;   in Loop: Header=BB62_9 Depth=2
	s_or_b32 exec_lo, exec_lo, s3
	v_add_f64 v[22:23], v[22:23], -v[9:10]
	v_add_f64 v[9:10], v[26:27], -v[11:12]
	s_mov_b32 s36, exec_lo
	v_cmpx_lt_i32_e64 v24, v36
	s_cbranch_execnz .LBB62_30
; %bb.18:                               ;   in Loop: Header=BB62_9 Depth=2
	s_or_b32 exec_lo, exec_lo, s36
	s_delay_alu instid0(SALU_CYCLE_1)
	s_mov_b32 s36, exec_lo
	v_cmpx_lt_i32_e64 v20, v33
	s_cbranch_execnz .LBB62_42
.LBB62_19:                              ;   in Loop: Header=BB62_9 Depth=2
	s_or_b32 exec_lo, exec_lo, s36
	s_delay_alu instid0(SALU_CYCLE_1)
	s_mov_b32 s3, exec_lo
	v_cmpx_eq_u32_e64 v15, v19
	s_cbranch_execz .LBB62_21
.LBB62_20:                              ;   in Loop: Header=BB62_9 Depth=2
	s_waitcnt vmcnt(0)
	s_delay_alu instid0(VALU_DEP_3) | instskip(NEXT) | instid1(VALU_DEP_3)
	v_add_f64 v[22:23], v[5:6], v[22:23]
	v_add_f64 v[9:10], v[7:8], v[9:10]
.LBB62_21:                              ;   in Loop: Header=BB62_9 Depth=2
	s_or_b32 exec_lo, exec_lo, s3
	s_delay_alu instid0(VALU_DEP_2) | instskip(NEXT) | instid1(VALU_DEP_2)
	v_cmp_gt_f64_e32 vcc_lo, 0, v[22:23]
	v_cmp_gt_f64_e64 s3, 0, v[9:10]
	s_waitcnt vmcnt(0)
	v_xor_b32_e32 v5, 0x80000000, v23
	v_xor_b32_e32 v6, 0x80000000, v10
	s_delay_alu instid0(VALU_DEP_2) | instskip(NEXT) | instid1(VALU_DEP_2)
	v_dual_cndmask_b32 v8, v23, v5 :: v_dual_cndmask_b32 v7, v22, v22
	v_cndmask_b32_e64 v12, v10, v6, s3
	v_cndmask_b32_e64 v11, v9, v9, s3
	s_mov_b32 s3, exec_lo
                                        ; implicit-def: $vgpr5_vgpr6
	s_delay_alu instid0(VALU_DEP_1)
	v_cmpx_ngt_f64_e32 v[7:8], v[11:12]
	s_xor_b32 s3, exec_lo, s3
	s_cbranch_execz .LBB62_25
; %bb.22:                               ;   in Loop: Header=BB62_9 Depth=2
	v_mov_b32_e32 v5, 0
	v_mov_b32_e32 v6, 0
	s_mov_b32 s36, exec_lo
	v_cmpx_neq_f64_e32 0, v[9:10]
	s_cbranch_execz .LBB62_24
; %bb.23:                               ;   in Loop: Header=BB62_9 Depth=2
	v_div_scale_f64 v[5:6], null, v[11:12], v[11:12], v[7:8]
	v_div_scale_f64 v[21:22], vcc_lo, v[7:8], v[11:12], v[7:8]
	s_delay_alu instid0(VALU_DEP_2) | instskip(SKIP_2) | instid1(VALU_DEP_1)
	v_rcp_f64_e32 v[9:10], v[5:6]
	s_waitcnt_depctr 0xfff
	v_fma_f64 v[19:20], -v[5:6], v[9:10], 1.0
	v_fma_f64 v[9:10], v[9:10], v[19:20], v[9:10]
	s_delay_alu instid0(VALU_DEP_1) | instskip(NEXT) | instid1(VALU_DEP_1)
	v_fma_f64 v[19:20], -v[5:6], v[9:10], 1.0
	v_fma_f64 v[9:10], v[9:10], v[19:20], v[9:10]
	s_delay_alu instid0(VALU_DEP_1) | instskip(NEXT) | instid1(VALU_DEP_1)
	v_mul_f64 v[19:20], v[21:22], v[9:10]
	v_fma_f64 v[5:6], -v[5:6], v[19:20], v[21:22]
	s_delay_alu instid0(VALU_DEP_1) | instskip(NEXT) | instid1(VALU_DEP_1)
	v_div_fmas_f64 v[5:6], v[5:6], v[9:10], v[19:20]
	v_div_fixup_f64 v[5:6], v[5:6], v[11:12], v[7:8]
	s_delay_alu instid0(VALU_DEP_1) | instskip(NEXT) | instid1(VALU_DEP_1)
	v_fma_f64 v[5:6], v[5:6], v[5:6], 1.0
	v_cmp_gt_f64_e32 vcc_lo, 0x10000000, v[5:6]
	v_cndmask_b32_e64 v7, 0, 1, vcc_lo
	s_delay_alu instid0(VALU_DEP_1) | instskip(NEXT) | instid1(VALU_DEP_1)
	v_lshlrev_b32_e32 v7, 8, v7
	v_ldexp_f64 v[5:6], v[5:6], v7
	s_delay_alu instid0(VALU_DEP_1) | instskip(SKIP_3) | instid1(VALU_DEP_1)
	v_rsq_f64_e32 v[7:8], v[5:6]
	s_waitcnt_depctr 0xfff
	v_mul_f64 v[9:10], v[5:6], v[7:8]
	v_mul_f64 v[7:8], v[7:8], 0.5
	v_fma_f64 v[19:20], -v[7:8], v[9:10], 0.5
	s_delay_alu instid0(VALU_DEP_1) | instskip(SKIP_1) | instid1(VALU_DEP_2)
	v_fma_f64 v[9:10], v[9:10], v[19:20], v[9:10]
	v_fma_f64 v[7:8], v[7:8], v[19:20], v[7:8]
	v_fma_f64 v[19:20], -v[9:10], v[9:10], v[5:6]
	s_delay_alu instid0(VALU_DEP_1) | instskip(NEXT) | instid1(VALU_DEP_1)
	v_fma_f64 v[9:10], v[19:20], v[7:8], v[9:10]
	v_fma_f64 v[19:20], -v[9:10], v[9:10], v[5:6]
	s_delay_alu instid0(VALU_DEP_1) | instskip(SKIP_2) | instid1(VALU_DEP_2)
	v_fma_f64 v[7:8], v[19:20], v[7:8], v[9:10]
	v_cndmask_b32_e64 v9, 0, 0xffffff80, vcc_lo
	v_cmp_class_f64_e64 vcc_lo, v[5:6], 0x260
	v_ldexp_f64 v[7:8], v[7:8], v9
	s_delay_alu instid0(VALU_DEP_1) | instskip(NEXT) | instid1(VALU_DEP_1)
	v_dual_cndmask_b32 v6, v8, v6 :: v_dual_cndmask_b32 v5, v7, v5
	v_mul_f64 v[5:6], v[11:12], v[5:6]
.LBB62_24:                              ;   in Loop: Header=BB62_9 Depth=2
	s_or_b32 exec_lo, exec_lo, s36
                                        ; implicit-def: $vgpr7_vgpr8
                                        ; implicit-def: $vgpr11_vgpr12
.LBB62_25:                              ;   in Loop: Header=BB62_9 Depth=2
	s_and_not1_saveexec_b32 s3, s3
	s_cbranch_execz .LBB62_27
; %bb.26:                               ;   in Loop: Header=BB62_9 Depth=2
	v_div_scale_f64 v[5:6], null, v[7:8], v[7:8], v[11:12]
	v_div_scale_f64 v[21:22], vcc_lo, v[11:12], v[7:8], v[11:12]
	s_delay_alu instid0(VALU_DEP_2) | instskip(SKIP_2) | instid1(VALU_DEP_1)
	v_rcp_f64_e32 v[9:10], v[5:6]
	s_waitcnt_depctr 0xfff
	v_fma_f64 v[19:20], -v[5:6], v[9:10], 1.0
	v_fma_f64 v[9:10], v[9:10], v[19:20], v[9:10]
	s_delay_alu instid0(VALU_DEP_1) | instskip(NEXT) | instid1(VALU_DEP_1)
	v_fma_f64 v[19:20], -v[5:6], v[9:10], 1.0
	v_fma_f64 v[9:10], v[9:10], v[19:20], v[9:10]
	s_delay_alu instid0(VALU_DEP_1) | instskip(NEXT) | instid1(VALU_DEP_1)
	v_mul_f64 v[19:20], v[21:22], v[9:10]
	v_fma_f64 v[5:6], -v[5:6], v[19:20], v[21:22]
	s_delay_alu instid0(VALU_DEP_1) | instskip(NEXT) | instid1(VALU_DEP_1)
	v_div_fmas_f64 v[5:6], v[5:6], v[9:10], v[19:20]
	v_div_fixup_f64 v[5:6], v[5:6], v[7:8], v[11:12]
	s_delay_alu instid0(VALU_DEP_1) | instskip(NEXT) | instid1(VALU_DEP_1)
	v_fma_f64 v[5:6], v[5:6], v[5:6], 1.0
	v_cmp_gt_f64_e32 vcc_lo, 0x10000000, v[5:6]
	v_cndmask_b32_e64 v9, 0, 1, vcc_lo
	s_delay_alu instid0(VALU_DEP_1) | instskip(NEXT) | instid1(VALU_DEP_1)
	v_lshlrev_b32_e32 v9, 8, v9
	v_ldexp_f64 v[5:6], v[5:6], v9
	s_delay_alu instid0(VALU_DEP_1) | instskip(SKIP_3) | instid1(VALU_DEP_1)
	v_rsq_f64_e32 v[9:10], v[5:6]
	s_waitcnt_depctr 0xfff
	v_mul_f64 v[11:12], v[5:6], v[9:10]
	v_mul_f64 v[9:10], v[9:10], 0.5
	v_fma_f64 v[19:20], -v[9:10], v[11:12], 0.5
	s_delay_alu instid0(VALU_DEP_1) | instskip(SKIP_1) | instid1(VALU_DEP_2)
	v_fma_f64 v[11:12], v[11:12], v[19:20], v[11:12]
	v_fma_f64 v[9:10], v[9:10], v[19:20], v[9:10]
	v_fma_f64 v[19:20], -v[11:12], v[11:12], v[5:6]
	s_delay_alu instid0(VALU_DEP_1) | instskip(NEXT) | instid1(VALU_DEP_1)
	v_fma_f64 v[11:12], v[19:20], v[9:10], v[11:12]
	v_fma_f64 v[19:20], -v[11:12], v[11:12], v[5:6]
	s_delay_alu instid0(VALU_DEP_1) | instskip(SKIP_2) | instid1(VALU_DEP_2)
	v_fma_f64 v[9:10], v[19:20], v[9:10], v[11:12]
	v_cndmask_b32_e64 v11, 0, 0xffffff80, vcc_lo
	v_cmp_class_f64_e64 vcc_lo, v[5:6], 0x260
	v_ldexp_f64 v[9:10], v[9:10], v11
	s_delay_alu instid0(VALU_DEP_1) | instskip(NEXT) | instid1(VALU_DEP_1)
	v_dual_cndmask_b32 v6, v10, v6 :: v_dual_cndmask_b32 v5, v9, v5
	v_mul_f64 v[5:6], v[7:8], v[5:6]
.LBB62_27:                              ;   in Loop: Header=BB62_9 Depth=2
	s_or_b32 exec_lo, exec_lo, s3
	v_cmp_gt_f64_e32 vcc_lo, 0, v[1:2]
	v_cmp_gt_f64_e64 s3, 0, v[3:4]
	v_xor_b32_e32 v7, 0x80000000, v2
	v_xor_b32_e32 v9, 0x80000000, v4
                                        ; implicit-def: $vgpr11_vgpr12
	s_delay_alu instid0(VALU_DEP_2) | instskip(NEXT) | instid1(VALU_DEP_2)
	v_dual_cndmask_b32 v8, v2, v7 :: v_dual_cndmask_b32 v7, v1, v1
	v_cndmask_b32_e64 v10, v4, v9, s3
	v_cndmask_b32_e64 v9, v3, v3, s3
	s_mov_b32 s3, exec_lo
	s_delay_alu instid0(VALU_DEP_1)
	v_cmpx_ngt_f64_e32 v[7:8], v[9:10]
	s_xor_b32 s3, exec_lo, s3
	s_cbranch_execnz .LBB62_34
; %bb.28:                               ;   in Loop: Header=BB62_9 Depth=2
	s_and_not1_saveexec_b32 s3, s3
	s_cbranch_execnz .LBB62_37
.LBB62_29:                              ;   in Loop: Header=BB62_9 Depth=2
	s_or_b32 exec_lo, exec_lo, s3
	s_delay_alu instid0(VALU_DEP_1) | instskip(NEXT) | instid1(VALU_DEP_1)
	v_cmp_class_f64_e64 s36, v[11:12], 0x1f8
	s_and_saveexec_b32 s3, s36
	s_cbranch_execz .LBB62_8
	s_branch .LBB62_38
.LBB62_30:                              ;   in Loop: Header=BB62_9 Depth=2
	v_ashrrev_i32_e32 v25, 31, v24
	s_mov_b32 s38, 0
                                        ; implicit-def: $sgpr37
                                        ; implicit-def: $sgpr40
                                        ; implicit-def: $sgpr39
	s_delay_alu instid0(VALU_DEP_1) | instskip(NEXT) | instid1(VALU_DEP_1)
	v_lshlrev_b64 v[11:12], 2, v[24:25]
	v_add_co_u32 v11, vcc_lo, s6, v11
	s_delay_alu instid0(VALU_DEP_2)
	v_add_co_ci_u32_e32 v12, vcc_lo, s7, v12, vcc_lo
	s_set_inst_prefetch_distance 0x1
	s_branch .LBB62_32
	.p2align	6
.LBB62_31:                              ;   in Loop: Header=BB62_32 Depth=3
	s_or_b32 exec_lo, exec_lo, s41
	s_delay_alu instid0(SALU_CYCLE_1) | instskip(NEXT) | instid1(SALU_CYCLE_1)
	s_and_b32 s3, exec_lo, s40
	s_or_b32 s38, s3, s38
	s_and_not1_b32 s3, s37, exec_lo
	s_and_b32 s37, s39, exec_lo
	s_delay_alu instid0(SALU_CYCLE_1)
	s_or_b32 s37, s3, s37
	s_and_not1_b32 exec_lo, exec_lo, s38
	s_cbranch_execz .LBB62_39
.LBB62_32:                              ;   Parent Loop BB62_5 Depth=1
                                        ;     Parent Loop BB62_9 Depth=2
                                        ; =>    This Inner Loop Header: Depth=3
	global_load_b32 v21, v[11:12], off
	v_dual_mov_b32 v27, v25 :: v_dual_mov_b32 v26, v24
	s_or_b32 s39, s39, exec_lo
	s_or_b32 s40, s40, exec_lo
	s_mov_b32 s41, exec_lo
                                        ; implicit-def: $vgpr24_vgpr25
	s_waitcnt vmcnt(0)
	v_subrev_nc_u32_e32 v21, s30, v21
	s_delay_alu instid0(VALU_DEP_1)
	v_cmpx_ne_u32_e64 v21, v15
	s_cbranch_execz .LBB62_31
; %bb.33:                               ;   in Loop: Header=BB62_32 Depth=3
	v_add_co_u32 v24, vcc_lo, v26, 1
	v_add_co_ci_u32_e32 v25, vcc_lo, 0, v27, vcc_lo
	v_add_co_u32 v11, s3, v11, 4
	s_delay_alu instid0(VALU_DEP_3) | instskip(SKIP_4) | instid1(SALU_CYCLE_1)
	v_cmp_ge_i32_e32 vcc_lo, v24, v36
	v_add_co_ci_u32_e64 v12, s3, 0, v12, s3
	s_and_not1_b32 s3, s40, exec_lo
	s_and_not1_b32 s39, s39, exec_lo
	s_and_b32 s40, vcc_lo, exec_lo
	s_or_b32 s40, s3, s40
	s_branch .LBB62_31
.LBB62_34:                              ;   in Loop: Header=BB62_9 Depth=2
	v_mov_b32_e32 v11, 0
	v_mov_b32_e32 v12, 0
	s_mov_b32 s36, exec_lo
	v_cmpx_neq_f64_e32 0, v[3:4]
	s_cbranch_execz .LBB62_36
; %bb.35:                               ;   in Loop: Header=BB62_9 Depth=2
	v_div_scale_f64 v[11:12], null, v[9:10], v[9:10], v[7:8]
	v_div_scale_f64 v[23:24], vcc_lo, v[7:8], v[9:10], v[7:8]
	s_delay_alu instid0(VALU_DEP_2) | instskip(SKIP_2) | instid1(VALU_DEP_1)
	v_rcp_f64_e32 v[19:20], v[11:12]
	s_waitcnt_depctr 0xfff
	v_fma_f64 v[21:22], -v[11:12], v[19:20], 1.0
	v_fma_f64 v[19:20], v[19:20], v[21:22], v[19:20]
	s_delay_alu instid0(VALU_DEP_1) | instskip(NEXT) | instid1(VALU_DEP_1)
	v_fma_f64 v[21:22], -v[11:12], v[19:20], 1.0
	v_fma_f64 v[19:20], v[19:20], v[21:22], v[19:20]
	s_delay_alu instid0(VALU_DEP_1) | instskip(NEXT) | instid1(VALU_DEP_1)
	v_mul_f64 v[21:22], v[23:24], v[19:20]
	v_fma_f64 v[11:12], -v[11:12], v[21:22], v[23:24]
	s_delay_alu instid0(VALU_DEP_1) | instskip(NEXT) | instid1(VALU_DEP_1)
	v_div_fmas_f64 v[11:12], v[11:12], v[19:20], v[21:22]
	v_div_fixup_f64 v[7:8], v[11:12], v[9:10], v[7:8]
	s_delay_alu instid0(VALU_DEP_1) | instskip(NEXT) | instid1(VALU_DEP_1)
	v_fma_f64 v[7:8], v[7:8], v[7:8], 1.0
	v_cmp_gt_f64_e32 vcc_lo, 0x10000000, v[7:8]
	v_cndmask_b32_e64 v11, 0, 1, vcc_lo
	s_delay_alu instid0(VALU_DEP_1) | instskip(NEXT) | instid1(VALU_DEP_1)
	v_lshlrev_b32_e32 v11, 8, v11
	v_ldexp_f64 v[7:8], v[7:8], v11
	s_delay_alu instid0(VALU_DEP_1) | instskip(SKIP_3) | instid1(VALU_DEP_1)
	v_rsq_f64_e32 v[11:12], v[7:8]
	s_waitcnt_depctr 0xfff
	v_mul_f64 v[19:20], v[7:8], v[11:12]
	v_mul_f64 v[11:12], v[11:12], 0.5
	v_fma_f64 v[21:22], -v[11:12], v[19:20], 0.5
	s_delay_alu instid0(VALU_DEP_1) | instskip(SKIP_1) | instid1(VALU_DEP_2)
	v_fma_f64 v[19:20], v[19:20], v[21:22], v[19:20]
	v_fma_f64 v[11:12], v[11:12], v[21:22], v[11:12]
	v_fma_f64 v[21:22], -v[19:20], v[19:20], v[7:8]
	s_delay_alu instid0(VALU_DEP_1) | instskip(NEXT) | instid1(VALU_DEP_1)
	v_fma_f64 v[19:20], v[21:22], v[11:12], v[19:20]
	v_fma_f64 v[21:22], -v[19:20], v[19:20], v[7:8]
	s_delay_alu instid0(VALU_DEP_1) | instskip(SKIP_2) | instid1(VALU_DEP_2)
	v_fma_f64 v[11:12], v[21:22], v[11:12], v[19:20]
	v_cndmask_b32_e64 v19, 0, 0xffffff80, vcc_lo
	v_cmp_class_f64_e64 vcc_lo, v[7:8], 0x260
	v_ldexp_f64 v[11:12], v[11:12], v19
	s_delay_alu instid0(VALU_DEP_1) | instskip(NEXT) | instid1(VALU_DEP_1)
	v_dual_cndmask_b32 v8, v12, v8 :: v_dual_cndmask_b32 v7, v11, v7
	v_mul_f64 v[11:12], v[9:10], v[7:8]
.LBB62_36:                              ;   in Loop: Header=BB62_9 Depth=2
	s_or_b32 exec_lo, exec_lo, s36
                                        ; implicit-def: $vgpr7_vgpr8
                                        ; implicit-def: $vgpr9_vgpr10
	s_and_not1_saveexec_b32 s3, s3
	s_cbranch_execz .LBB62_29
.LBB62_37:                              ;   in Loop: Header=BB62_9 Depth=2
	v_div_scale_f64 v[11:12], null, v[7:8], v[7:8], v[9:10]
	v_div_scale_f64 v[23:24], vcc_lo, v[9:10], v[7:8], v[9:10]
	s_delay_alu instid0(VALU_DEP_2) | instskip(SKIP_2) | instid1(VALU_DEP_1)
	v_rcp_f64_e32 v[19:20], v[11:12]
	s_waitcnt_depctr 0xfff
	v_fma_f64 v[21:22], -v[11:12], v[19:20], 1.0
	v_fma_f64 v[19:20], v[19:20], v[21:22], v[19:20]
	s_delay_alu instid0(VALU_DEP_1) | instskip(NEXT) | instid1(VALU_DEP_1)
	v_fma_f64 v[21:22], -v[11:12], v[19:20], 1.0
	v_fma_f64 v[19:20], v[19:20], v[21:22], v[19:20]
	s_delay_alu instid0(VALU_DEP_1) | instskip(NEXT) | instid1(VALU_DEP_1)
	v_mul_f64 v[21:22], v[23:24], v[19:20]
	v_fma_f64 v[11:12], -v[11:12], v[21:22], v[23:24]
	s_delay_alu instid0(VALU_DEP_1) | instskip(NEXT) | instid1(VALU_DEP_1)
	v_div_fmas_f64 v[11:12], v[11:12], v[19:20], v[21:22]
	v_div_fixup_f64 v[9:10], v[11:12], v[7:8], v[9:10]
	s_delay_alu instid0(VALU_DEP_1) | instskip(NEXT) | instid1(VALU_DEP_1)
	v_fma_f64 v[9:10], v[9:10], v[9:10], 1.0
	v_cmp_gt_f64_e32 vcc_lo, 0x10000000, v[9:10]
	v_cndmask_b32_e64 v11, 0, 1, vcc_lo
	s_delay_alu instid0(VALU_DEP_1) | instskip(NEXT) | instid1(VALU_DEP_1)
	v_lshlrev_b32_e32 v11, 8, v11
	v_ldexp_f64 v[9:10], v[9:10], v11
	s_delay_alu instid0(VALU_DEP_1) | instskip(SKIP_3) | instid1(VALU_DEP_1)
	v_rsq_f64_e32 v[11:12], v[9:10]
	s_waitcnt_depctr 0xfff
	v_mul_f64 v[19:20], v[9:10], v[11:12]
	v_mul_f64 v[11:12], v[11:12], 0.5
	v_fma_f64 v[21:22], -v[11:12], v[19:20], 0.5
	s_delay_alu instid0(VALU_DEP_1) | instskip(SKIP_1) | instid1(VALU_DEP_2)
	v_fma_f64 v[19:20], v[19:20], v[21:22], v[19:20]
	v_fma_f64 v[11:12], v[11:12], v[21:22], v[11:12]
	v_fma_f64 v[21:22], -v[19:20], v[19:20], v[9:10]
	s_delay_alu instid0(VALU_DEP_1) | instskip(NEXT) | instid1(VALU_DEP_1)
	v_fma_f64 v[19:20], v[21:22], v[11:12], v[19:20]
	v_fma_f64 v[21:22], -v[19:20], v[19:20], v[9:10]
	s_delay_alu instid0(VALU_DEP_1) | instskip(SKIP_2) | instid1(VALU_DEP_2)
	v_fma_f64 v[11:12], v[21:22], v[11:12], v[19:20]
	v_cndmask_b32_e64 v19, 0, 0xffffff80, vcc_lo
	v_cmp_class_f64_e64 vcc_lo, v[9:10], 0x260
	v_ldexp_f64 v[11:12], v[11:12], v19
	s_delay_alu instid0(VALU_DEP_1) | instskip(NEXT) | instid1(VALU_DEP_1)
	v_dual_cndmask_b32 v10, v12, v10 :: v_dual_cndmask_b32 v9, v11, v9
	v_mul_f64 v[11:12], v[7:8], v[9:10]
	s_or_b32 exec_lo, exec_lo, s3
	s_delay_alu instid0(VALU_DEP_1) | instskip(NEXT) | instid1(VALU_DEP_1)
	v_cmp_class_f64_e64 s36, v[11:12], 0x1f8
	s_and_saveexec_b32 s3, s36
	s_cbranch_execz .LBB62_8
.LBB62_38:                              ;   in Loop: Header=BB62_9 Depth=2
	v_add_co_u32 v7, vcc_lo, s10, v17
	v_add_co_ci_u32_e32 v8, vcc_lo, s11, v18, vcc_lo
	global_store_b128 v[7:8], v[1:4], off
	s_branch .LBB62_8
.LBB62_39:                              ;   in Loop: Header=BB62_9 Depth=2
	s_set_inst_prefetch_distance 0x2
	s_or_b32 exec_lo, exec_lo, s38
	s_and_saveexec_b32 s3, s37
	s_delay_alu instid0(SALU_CYCLE_1)
	s_xor_b32 s3, exec_lo, s3
	s_cbranch_execz .LBB62_41
; %bb.40:                               ;   in Loop: Header=BB62_9 Depth=2
	v_lshlrev_b64 v[11:12], 2, v[26:27]
	s_delay_alu instid0(VALU_DEP_1) | instskip(NEXT) | instid1(VALU_DEP_2)
	v_add_co_u32 v11, vcc_lo, s8, v11
	v_add_co_ci_u32_e32 v12, vcc_lo, s9, v12, vcc_lo
	global_load_b32 v11, v[11:12], off
	s_waitcnt vmcnt(0)
	v_ashrrev_i32_e32 v12, 31, v11
	s_delay_alu instid0(VALU_DEP_1) | instskip(NEXT) | instid1(VALU_DEP_1)
	v_lshlrev_b64 v[11:12], 4, v[11:12]
	v_add_co_u32 v11, vcc_lo, s10, v11
	s_delay_alu instid0(VALU_DEP_2)
	v_add_co_ci_u32_e32 v12, vcc_lo, s11, v12, vcc_lo
	global_load_b128 v[24:27], v[11:12], off
	s_waitcnt vmcnt(0)
	v_add_f64 v[22:23], v[22:23], v[24:25]
	v_add_f64 v[9:10], v[9:10], v[26:27]
.LBB62_41:                              ;   in Loop: Header=BB62_9 Depth=2
	s_or_b32 exec_lo, exec_lo, s3
	s_delay_alu instid0(SALU_CYCLE_1) | instskip(NEXT) | instid1(SALU_CYCLE_1)
	s_or_b32 exec_lo, exec_lo, s36
	s_mov_b32 s36, exec_lo
	v_cmpx_lt_i32_e64 v20, v33
	s_cbranch_execz .LBB62_19
.LBB62_42:                              ;   in Loop: Header=BB62_9 Depth=2
	v_ashrrev_i32_e32 v21, 31, v20
	s_mov_b32 s38, 0
                                        ; implicit-def: $sgpr37
                                        ; implicit-def: $sgpr40
                                        ; implicit-def: $sgpr39
	s_delay_alu instid0(VALU_DEP_1) | instskip(NEXT) | instid1(VALU_DEP_1)
	v_lshlrev_b64 v[11:12], 2, v[20:21]
	v_add_co_u32 v11, vcc_lo, s16, v11
	s_delay_alu instid0(VALU_DEP_2)
	v_add_co_ci_u32_e32 v12, vcc_lo, s17, v12, vcc_lo
	s_set_inst_prefetch_distance 0x1
	s_branch .LBB62_44
	.p2align	6
.LBB62_43:                              ;   in Loop: Header=BB62_44 Depth=3
	s_or_b32 exec_lo, exec_lo, s41
	s_delay_alu instid0(SALU_CYCLE_1) | instskip(NEXT) | instid1(SALU_CYCLE_1)
	s_and_b32 s3, exec_lo, s40
	s_or_b32 s38, s3, s38
	s_and_not1_b32 s3, s37, exec_lo
	s_and_b32 s37, s39, exec_lo
	s_delay_alu instid0(SALU_CYCLE_1)
	s_or_b32 s37, s3, s37
	s_and_not1_b32 exec_lo, exec_lo, s38
	s_cbranch_execz .LBB62_46
.LBB62_44:                              ;   Parent Loop BB62_5 Depth=1
                                        ;     Parent Loop BB62_9 Depth=2
                                        ; =>    This Inner Loop Header: Depth=3
	global_load_b32 v26, v[11:12], off
	v_dual_mov_b32 v25, v21 :: v_dual_mov_b32 v24, v20
	s_or_b32 s39, s39, exec_lo
	s_or_b32 s40, s40, exec_lo
	s_mov_b32 s41, exec_lo
                                        ; implicit-def: $vgpr20_vgpr21
	s_waitcnt vmcnt(0)
	v_cmpx_ne_u32_e64 v26, v35
	s_cbranch_execz .LBB62_43
; %bb.45:                               ;   in Loop: Header=BB62_44 Depth=3
	v_add_co_u32 v20, vcc_lo, v24, 1
	v_add_co_ci_u32_e32 v21, vcc_lo, 0, v25, vcc_lo
	v_add_co_u32 v11, s3, v11, 4
	s_delay_alu instid0(VALU_DEP_3) | instskip(SKIP_4) | instid1(SALU_CYCLE_1)
	v_cmp_ge_i32_e32 vcc_lo, v20, v33
	v_add_co_ci_u32_e64 v12, s3, 0, v12, s3
	s_and_not1_b32 s3, s40, exec_lo
	s_and_not1_b32 s39, s39, exec_lo
	s_and_b32 s40, vcc_lo, exec_lo
	s_or_b32 s40, s3, s40
	s_branch .LBB62_43
.LBB62_46:                              ;   in Loop: Header=BB62_9 Depth=2
	s_set_inst_prefetch_distance 0x2
	s_or_b32 exec_lo, exec_lo, s38
	s_and_saveexec_b32 s3, s37
	s_delay_alu instid0(SALU_CYCLE_1)
	s_xor_b32 s3, exec_lo, s3
	s_cbranch_execz .LBB62_48
; %bb.47:                               ;   in Loop: Header=BB62_9 Depth=2
	v_lshlrev_b64 v[11:12], 4, v[24:25]
	s_delay_alu instid0(VALU_DEP_1) | instskip(NEXT) | instid1(VALU_DEP_2)
	v_add_co_u32 v11, vcc_lo, s10, v11
	v_add_co_ci_u32_e32 v12, vcc_lo, s11, v12, vcc_lo
	global_load_b128 v[24:27], v[11:12], off
	s_waitcnt vmcnt(0)
	v_fma_f64 v[11:12], v[24:25], v[5:6], v[22:23]
	v_fma_f64 v[9:10], v[26:27], v[5:6], v[9:10]
	s_delay_alu instid0(VALU_DEP_2) | instskip(NEXT) | instid1(VALU_DEP_2)
	v_fma_f64 v[22:23], -v[26:27], v[7:8], v[11:12]
	v_fma_f64 v[9:10], v[24:25], v[7:8], v[9:10]
.LBB62_48:                              ;   in Loop: Header=BB62_9 Depth=2
	s_or_b32 exec_lo, exec_lo, s3
	s_delay_alu instid0(SALU_CYCLE_1) | instskip(NEXT) | instid1(SALU_CYCLE_1)
	s_or_b32 exec_lo, exec_lo, s36
	s_mov_b32 s3, exec_lo
	v_cmpx_eq_u32_e64 v15, v19
	s_cbranch_execnz .LBB62_20
	s_branch .LBB62_21
.LBB62_49:
	s_or_b32 exec_lo, exec_lo, s29
	v_mbcnt_lo_u32_b32 v5, -1, 0
	s_delay_alu instid0(VALU_DEP_1) | instskip(SKIP_2) | instid1(VALU_DEP_3)
	v_or_b32_e32 v1, 32, v5
	v_xor_b32_e32 v3, 16, v5
	v_xor_b32_e32 v6, 8, v5
	v_cmp_gt_i32_e32 vcc_lo, 32, v1
	s_delay_alu instid0(VALU_DEP_3) | instskip(SKIP_1) | instid1(VALU_DEP_2)
	v_cmp_gt_i32_e64 s2, 32, v3
	v_cndmask_b32_e32 v1, v5, v1, vcc_lo
	v_cndmask_b32_e64 v3, v5, v3, s2
	v_cmp_gt_i32_e64 s2, 32, v6
	s_delay_alu instid0(VALU_DEP_3) | instskip(NEXT) | instid1(VALU_DEP_2)
	v_lshlrev_b32_e32 v2, 2, v1
	v_cndmask_b32_e64 v6, v5, v6, s2
	ds_bpermute_b32 v1, v2, v13
	ds_bpermute_b32 v2, v2, v14
	v_lshlrev_b32_e32 v6, 2, v6
	s_waitcnt lgkmcnt(0)
	v_cmp_lt_f64_e32 vcc_lo, v[13:14], v[1:2]
	v_dual_cndmask_b32 v2, v14, v2 :: v_dual_lshlrev_b32 v3, 2, v3
	v_cndmask_b32_e32 v1, v13, v1, vcc_lo
	ds_bpermute_b32 v4, v3, v2
	ds_bpermute_b32 v3, v3, v1
	s_waitcnt lgkmcnt(0)
	v_cmp_lt_f64_e32 vcc_lo, v[1:2], v[3:4]
	v_dual_cndmask_b32 v2, v2, v4 :: v_dual_cndmask_b32 v1, v1, v3
	ds_bpermute_b32 v4, v6, v2
	ds_bpermute_b32 v3, v6, v1
	v_xor_b32_e32 v6, 4, v5
	s_delay_alu instid0(VALU_DEP_1) | instskip(NEXT) | instid1(VALU_DEP_1)
	v_cmp_gt_i32_e64 s2, 32, v6
	v_cndmask_b32_e64 v6, v5, v6, s2
	s_waitcnt lgkmcnt(0)
	v_cmp_lt_f64_e32 vcc_lo, v[1:2], v[3:4]
	s_delay_alu instid0(VALU_DEP_2) | instskip(SKIP_4) | instid1(VALU_DEP_1)
	v_dual_cndmask_b32 v1, v1, v3 :: v_dual_lshlrev_b32 v6, 2, v6
	ds_bpermute_b32 v3, v6, v1
	v_cndmask_b32_e32 v2, v2, v4, vcc_lo
	ds_bpermute_b32 v4, v6, v2
	v_xor_b32_e32 v6, 2, v5
	v_cmp_gt_i32_e64 s2, 32, v6
	s_delay_alu instid0(VALU_DEP_1) | instskip(SKIP_2) | instid1(VALU_DEP_2)
	v_cndmask_b32_e64 v6, v5, v6, s2
	s_waitcnt lgkmcnt(0)
	v_cmp_lt_f64_e32 vcc_lo, v[1:2], v[3:4]
	v_dual_cndmask_b32 v1, v1, v3 :: v_dual_lshlrev_b32 v6, 2, v6
	v_cndmask_b32_e32 v2, v2, v4, vcc_lo
	ds_bpermute_b32 v3, v6, v1
	ds_bpermute_b32 v4, v6, v2
	v_xor_b32_e32 v6, 1, v5
	s_delay_alu instid0(VALU_DEP_1) | instskip(NEXT) | instid1(VALU_DEP_1)
	v_cmp_gt_i32_e64 s2, 32, v6
	v_cndmask_b32_e64 v5, v5, v6, s2
	s_mov_b32 s2, exec_lo
	s_delay_alu instid0(VALU_DEP_1)
	v_lshlrev_b32_e32 v5, 2, v5
	s_waitcnt lgkmcnt(0)
	v_cmp_lt_f64_e32 vcc_lo, v[1:2], v[3:4]
	v_dual_cndmask_b32 v2, v2, v4 :: v_dual_cndmask_b32 v1, v1, v3
	ds_bpermute_b32 v4, v5, v2
	ds_bpermute_b32 v3, v5, v1
	v_cmpx_eq_u32_e32 63, v29
	s_cbranch_execz .LBB62_51
; %bb.50:
	s_waitcnt lgkmcnt(0)
	v_cmp_lt_f64_e32 vcc_lo, v[1:2], v[3:4]
	v_lshlrev_b32_e32 v5, 3, v28
	v_dual_cndmask_b32 v2, v2, v4 :: v_dual_cndmask_b32 v1, v1, v3
	ds_store_b64 v5, v[1:2]
.LBB62_51:
	s_or_b32 exec_lo, exec_lo, s2
	v_lshlrev_b32_e32 v1, 3, v0
	s_mov_b32 s2, exec_lo
	s_waitcnt lgkmcnt(0)
	s_waitcnt_vscnt null, 0x0
	s_barrier
	buffer_gl0_inv
	v_cmpx_gt_u32_e32 8, v0
	s_cbranch_execz .LBB62_53
; %bb.52:
	ds_load_2addr_b64 v[2:5], v1 offset1:8
	s_waitcnt lgkmcnt(0)
	v_cmp_lt_f64_e32 vcc_lo, v[2:3], v[4:5]
	v_dual_cndmask_b32 v3, v3, v5 :: v_dual_cndmask_b32 v2, v2, v4
	ds_store_b64 v1, v[2:3]
.LBB62_53:
	s_or_b32 exec_lo, exec_lo, s2
	s_delay_alu instid0(SALU_CYCLE_1)
	s_mov_b32 s2, exec_lo
	s_waitcnt lgkmcnt(0)
	s_barrier
	buffer_gl0_inv
	v_cmpx_gt_u32_e32 4, v0
	s_cbranch_execz .LBB62_55
; %bb.54:
	ds_load_2addr_b64 v[2:5], v1 offset1:4
	s_waitcnt lgkmcnt(0)
	v_cmp_lt_f64_e32 vcc_lo, v[2:3], v[4:5]
	v_dual_cndmask_b32 v3, v3, v5 :: v_dual_cndmask_b32 v2, v2, v4
	ds_store_b64 v1, v[2:3]
.LBB62_55:
	s_or_b32 exec_lo, exec_lo, s2
	s_delay_alu instid0(SALU_CYCLE_1)
	s_mov_b32 s2, exec_lo
	s_waitcnt lgkmcnt(0)
	s_barrier
	buffer_gl0_inv
	v_cmpx_gt_u32_e32 2, v0
	s_cbranch_execz .LBB62_57
; %bb.56:
	ds_load_2addr_b64 v[2:5], v1 offset1:2
	s_waitcnt lgkmcnt(0)
	v_cmp_lt_f64_e32 vcc_lo, v[2:3], v[4:5]
	v_dual_cndmask_b32 v3, v3, v5 :: v_dual_cndmask_b32 v2, v2, v4
	ds_store_b64 v1, v[2:3]
.LBB62_57:
	s_or_b32 exec_lo, exec_lo, s2
	v_cmp_eq_u32_e32 vcc_lo, 0, v0
	s_waitcnt lgkmcnt(0)
	s_barrier
	buffer_gl0_inv
	s_and_saveexec_b32 s3, vcc_lo
	s_cbranch_execz .LBB62_59
; %bb.58:
	v_mov_b32_e32 v4, 0
	ds_load_b128 v[0:3], v4
	s_waitcnt lgkmcnt(0)
	v_cmp_lt_f64_e64 s2, v[0:1], v[2:3]
	s_delay_alu instid0(VALU_DEP_1)
	v_cndmask_b32_e64 v1, v1, v3, s2
	v_cndmask_b32_e64 v0, v0, v2, s2
	ds_store_b64 v4, v[0:1]
.LBB62_59:
	s_or_b32 exec_lo, exec_lo, s3
	s_waitcnt lgkmcnt(0)
	s_barrier
	buffer_gl0_inv
	s_and_saveexec_b32 s2, vcc_lo
	s_cbranch_execz .LBB62_64
; %bb.60:
	s_load_b128 s[4:7], s[0:1], 0x70
	v_mov_b32_e32 v4, 0
	s_brev_b32 s3, 1
	s_mov_b32 s2, 0
	ds_load_b64 v[0:1], v4
	s_waitcnt lgkmcnt(0)
	s_load_b64 s[0:1], s[6:7], 0x0
	global_load_b64 v[2:3], v4, s[4:5] glc
	s_waitcnt lgkmcnt(0)
	v_div_scale_f64 v[5:6], null, s[0:1], s[0:1], v[0:1]
	s_delay_alu instid0(VALU_DEP_1) | instskip(SKIP_2) | instid1(VALU_DEP_1)
	v_rcp_f64_e32 v[7:8], v[5:6]
	s_waitcnt_depctr 0xfff
	v_fma_f64 v[9:10], -v[5:6], v[7:8], 1.0
	v_fma_f64 v[7:8], v[7:8], v[9:10], v[7:8]
	s_delay_alu instid0(VALU_DEP_1) | instskip(NEXT) | instid1(VALU_DEP_1)
	v_fma_f64 v[9:10], -v[5:6], v[7:8], 1.0
	v_fma_f64 v[7:8], v[7:8], v[9:10], v[7:8]
	v_div_scale_f64 v[9:10], vcc_lo, v[0:1], s[0:1], v[0:1]
	s_delay_alu instid0(VALU_DEP_1) | instskip(NEXT) | instid1(VALU_DEP_1)
	v_mul_f64 v[11:12], v[9:10], v[7:8]
	v_fma_f64 v[5:6], -v[5:6], v[11:12], v[9:10]
	s_waitcnt vmcnt(0)
	v_cmp_eq_u64_e64 s6, s[2:3], v[2:3]
                                        ; implicit-def: $sgpr3
	s_delay_alu instid0(VALU_DEP_2) | instskip(NEXT) | instid1(VALU_DEP_1)
	v_div_fmas_f64 v[5:6], v[5:6], v[7:8], v[11:12]
	v_div_fixup_f64 v[0:1], v[5:6], s[0:1], v[0:1]
                                        ; implicit-def: $sgpr1
	s_delay_alu instid0(VALU_DEP_1)
	v_cmp_eq_f64_e32 vcc_lo, 0, v[0:1]
	s_set_inst_prefetch_distance 0x1
	s_branch .LBB62_62
	.p2align	6
.LBB62_61:                              ;   in Loop: Header=BB62_62 Depth=1
	s_or_b32 exec_lo, exec_lo, s7
	s_delay_alu instid0(SALU_CYCLE_1) | instskip(NEXT) | instid1(SALU_CYCLE_1)
	s_and_b32 s0, exec_lo, s1
	s_or_b32 s2, s0, s2
	s_and_not1_b32 s0, s6, exec_lo
	s_and_b32 s6, s3, exec_lo
	s_delay_alu instid0(SALU_CYCLE_1)
	s_or_b32 s6, s0, s6
	s_and_not1_b32 exec_lo, exec_lo, s2
	s_cbranch_execz .LBB62_64
.LBB62_62:                              ; =>This Inner Loop Header: Depth=1
	v_cmp_lt_f64_e64 s0, v[2:3], v[0:1]
	s_and_b32 s7, vcc_lo, s6
	s_and_not1_b32 s3, s3, exec_lo
	s_or_b32 s1, s1, exec_lo
	s_delay_alu instid0(VALU_DEP_1) | instskip(NEXT) | instid1(SALU_CYCLE_1)
	s_or_b32 s0, s0, s7
	s_and_saveexec_b32 s7, s0
	s_cbranch_execz .LBB62_61
; %bb.63:                               ;   in Loop: Header=BB62_62 Depth=1
	global_atomic_cmpswap_b64 v[5:6], v4, v[0:3], s[4:5] glc
	s_and_not1_b32 s3, s3, exec_lo
	s_and_not1_b32 s1, s1, exec_lo
	s_waitcnt vmcnt(0)
	v_cmp_eq_u64_e64 s0, v[5:6], v[2:3]
	s_delay_alu instid0(VALU_DEP_1) | instskip(SKIP_2) | instid1(SALU_CYCLE_1)
	v_cndmask_b32_e64 v3, v6, v3, s0
	v_cndmask_b32_e64 v2, v5, v2, s0
	s_and_b32 s0, s0, exec_lo
	s_or_b32 s1, s1, s0
	s_delay_alu instid0(VALU_DEP_1) | instskip(SKIP_1) | instid1(VALU_DEP_2)
	v_cmp_class_f64_e64 s6, v[2:3], 32
	v_dual_mov_b32 v2, v5 :: v_dual_mov_b32 v3, v6
	s_and_b32 s6, s6, exec_lo
	s_delay_alu instid0(SALU_CYCLE_1)
	s_or_b32 s3, s3, s6
                                        ; implicit-def: $sgpr6
	s_branch .LBB62_61
.LBB62_64:
	s_set_inst_prefetch_distance 0x2
	s_endpgm
	.section	.rodata,"a",@progbits
	.p2align	6, 0x0
	.amdhsa_kernel _ZN9rocsparseL16kernel_calculateILi1024ELi64ELb1E21rocsparse_complex_numIdEiiEEvT4_T3_PKS4_S6_PKS3_PKT2_21rocsparse_index_base_S6_S6_S8_S6_S6_S8_S6_PS9_PNS_15floating_traitsIS9_E6data_tEPKSG_
		.amdhsa_group_segment_fixed_size 128
		.amdhsa_private_segment_fixed_size 0
		.amdhsa_kernarg_size 128
		.amdhsa_user_sgpr_count 15
		.amdhsa_user_sgpr_dispatch_ptr 0
		.amdhsa_user_sgpr_queue_ptr 0
		.amdhsa_user_sgpr_kernarg_segment_ptr 1
		.amdhsa_user_sgpr_dispatch_id 0
		.amdhsa_user_sgpr_private_segment_size 0
		.amdhsa_wavefront_size32 1
		.amdhsa_uses_dynamic_stack 0
		.amdhsa_enable_private_segment 0
		.amdhsa_system_sgpr_workgroup_id_x 1
		.amdhsa_system_sgpr_workgroup_id_y 0
		.amdhsa_system_sgpr_workgroup_id_z 0
		.amdhsa_system_sgpr_workgroup_info 0
		.amdhsa_system_vgpr_workitem_id 0
		.amdhsa_next_free_vgpr 47
		.amdhsa_next_free_sgpr 42
		.amdhsa_reserve_vcc 1
		.amdhsa_float_round_mode_32 0
		.amdhsa_float_round_mode_16_64 0
		.amdhsa_float_denorm_mode_32 3
		.amdhsa_float_denorm_mode_16_64 3
		.amdhsa_dx10_clamp 1
		.amdhsa_ieee_mode 1
		.amdhsa_fp16_overflow 0
		.amdhsa_workgroup_processor_mode 1
		.amdhsa_memory_ordered 1
		.amdhsa_forward_progress 0
		.amdhsa_shared_vgpr_count 0
		.amdhsa_exception_fp_ieee_invalid_op 0
		.amdhsa_exception_fp_denorm_src 0
		.amdhsa_exception_fp_ieee_div_zero 0
		.amdhsa_exception_fp_ieee_overflow 0
		.amdhsa_exception_fp_ieee_underflow 0
		.amdhsa_exception_fp_ieee_inexact 0
		.amdhsa_exception_int_div_zero 0
	.end_amdhsa_kernel
	.section	.text._ZN9rocsparseL16kernel_calculateILi1024ELi64ELb1E21rocsparse_complex_numIdEiiEEvT4_T3_PKS4_S6_PKS3_PKT2_21rocsparse_index_base_S6_S6_S8_S6_S6_S8_S6_PS9_PNS_15floating_traitsIS9_E6data_tEPKSG_,"axG",@progbits,_ZN9rocsparseL16kernel_calculateILi1024ELi64ELb1E21rocsparse_complex_numIdEiiEEvT4_T3_PKS4_S6_PKS3_PKT2_21rocsparse_index_base_S6_S6_S8_S6_S6_S8_S6_PS9_PNS_15floating_traitsIS9_E6data_tEPKSG_,comdat
.Lfunc_end62:
	.size	_ZN9rocsparseL16kernel_calculateILi1024ELi64ELb1E21rocsparse_complex_numIdEiiEEvT4_T3_PKS4_S6_PKS3_PKT2_21rocsparse_index_base_S6_S6_S8_S6_S6_S8_S6_PS9_PNS_15floating_traitsIS9_E6data_tEPKSG_, .Lfunc_end62-_ZN9rocsparseL16kernel_calculateILi1024ELi64ELb1E21rocsparse_complex_numIdEiiEEvT4_T3_PKS4_S6_PKS3_PKT2_21rocsparse_index_base_S6_S6_S8_S6_S6_S8_S6_PS9_PNS_15floating_traitsIS9_E6data_tEPKSG_
                                        ; -- End function
	.section	.AMDGPU.csdata,"",@progbits
; Kernel info:
; codeLenInByte = 4580
; NumSgprs: 44
; NumVgprs: 47
; ScratchSize: 0
; MemoryBound: 1
; FloatMode: 240
; IeeeMode: 1
; LDSByteSize: 128 bytes/workgroup (compile time only)
; SGPRBlocks: 5
; VGPRBlocks: 5
; NumSGPRsForWavesPerEU: 44
; NumVGPRsForWavesPerEU: 47
; Occupancy: 16
; WaveLimiterHint : 1
; COMPUTE_PGM_RSRC2:SCRATCH_EN: 0
; COMPUTE_PGM_RSRC2:USER_SGPR: 15
; COMPUTE_PGM_RSRC2:TRAP_HANDLER: 0
; COMPUTE_PGM_RSRC2:TGID_X_EN: 1
; COMPUTE_PGM_RSRC2:TGID_Y_EN: 0
; COMPUTE_PGM_RSRC2:TGID_Z_EN: 0
; COMPUTE_PGM_RSRC2:TIDIG_COMP_CNT: 0
	.section	.text._ZN9rocsparseL16kernel_calculateILi1024ELi1ELb0E21rocsparse_complex_numIdEiiEEvT4_T3_PKS4_S6_PKS3_PKT2_21rocsparse_index_base_S6_S6_S8_S6_S6_S8_S6_PS9_PNS_15floating_traitsIS9_E6data_tEPKSG_,"axG",@progbits,_ZN9rocsparseL16kernel_calculateILi1024ELi1ELb0E21rocsparse_complex_numIdEiiEEvT4_T3_PKS4_S6_PKS3_PKT2_21rocsparse_index_base_S6_S6_S8_S6_S6_S8_S6_PS9_PNS_15floating_traitsIS9_E6data_tEPKSG_,comdat
	.globl	_ZN9rocsparseL16kernel_calculateILi1024ELi1ELb0E21rocsparse_complex_numIdEiiEEvT4_T3_PKS4_S6_PKS3_PKT2_21rocsparse_index_base_S6_S6_S8_S6_S6_S8_S6_PS9_PNS_15floating_traitsIS9_E6data_tEPKSG_ ; -- Begin function _ZN9rocsparseL16kernel_calculateILi1024ELi1ELb0E21rocsparse_complex_numIdEiiEEvT4_T3_PKS4_S6_PKS3_PKT2_21rocsparse_index_base_S6_S6_S8_S6_S6_S8_S6_PS9_PNS_15floating_traitsIS9_E6data_tEPKSG_
	.p2align	8
	.type	_ZN9rocsparseL16kernel_calculateILi1024ELi1ELb0E21rocsparse_complex_numIdEiiEEvT4_T3_PKS4_S6_PKS3_PKT2_21rocsparse_index_base_S6_S6_S8_S6_S6_S8_S6_PS9_PNS_15floating_traitsIS9_E6data_tEPKSG_,@function
_ZN9rocsparseL16kernel_calculateILi1024ELi1ELb0E21rocsparse_complex_numIdEiiEEvT4_T3_PKS4_S6_PKS3_PKT2_21rocsparse_index_base_S6_S6_S8_S6_S6_S8_S6_PS9_PNS_15floating_traitsIS9_E6data_tEPKSG_: ; @_ZN9rocsparseL16kernel_calculateILi1024ELi1ELb0E21rocsparse_complex_numIdEiiEEvT4_T3_PKS4_S6_PKS3_PKT2_21rocsparse_index_base_S6_S6_S8_S6_S6_S8_S6_PS9_PNS_15floating_traitsIS9_E6data_tEPKSG_
; %bb.0:
	s_load_b32 s2, s[0:1], 0x0
	v_lshl_or_b32 v8, s15, 10, v0
	s_waitcnt lgkmcnt(0)
	s_delay_alu instid0(VALU_DEP_1)
	v_cmp_gt_i32_e32 vcc_lo, s2, v8
	s_and_saveexec_b32 s2, vcc_lo
	s_cbranch_execz .LBB63_20
; %bb.1:
	s_load_b128 s[4:7], s[0:1], 0x8
	v_ashrrev_i32_e32 v9, 31, v8
	s_delay_alu instid0(VALU_DEP_1) | instskip(SKIP_1) | instid1(VALU_DEP_1)
	v_lshlrev_b64 v[0:1], 2, v[8:9]
	s_waitcnt lgkmcnt(0)
	v_add_co_u32 v2, vcc_lo, s6, v0
	s_delay_alu instid0(VALU_DEP_2)
	v_add_co_ci_u32_e32 v3, vcc_lo, s7, v1, vcc_lo
	v_add_co_u32 v4, vcc_lo, s4, v0
	v_add_co_ci_u32_e32 v5, vcc_lo, s5, v1, vcc_lo
	global_load_b32 v2, v[2:3], off
	global_load_b32 v3, v[4:5], off
	s_waitcnt vmcnt(0)
	v_cmp_lt_i32_e32 vcc_lo, v3, v2
	s_and_b32 exec_lo, exec_lo, vcc_lo
	s_cbranch_execz .LBB63_20
; %bb.2:
	s_load_b256 s[4:11], s[0:1], 0x30
	s_mov_b32 s3, 0
	s_waitcnt lgkmcnt(0)
	v_add_co_u32 v4, vcc_lo, s6, v0
	v_add_co_ci_u32_e32 v5, vcc_lo, s7, v1, vcc_lo
	v_add_co_u32 v0, vcc_lo, s4, v0
	v_add_co_ci_u32_e32 v1, vcc_lo, s5, v1, vcc_lo
	global_load_b32 v4, v[4:5], off
	global_load_b32 v0, v[0:1], off
	s_clause 0x2
	s_load_b32 s2, s[0:1], 0x28
	s_load_b128 s[20:23], s[0:1], 0x18
	s_load_b256 s[12:19], s[0:1], 0x50
	s_waitcnt lgkmcnt(0)
	v_subrev_nc_u32_e32 v23, s2, v2
	v_subrev_nc_u32_e32 v9, s2, v3
	s_waitcnt vmcnt(1)
	v_subrev_nc_u32_e32 v24, s2, v4
	s_waitcnt vmcnt(0)
	v_cmp_lt_i32_e64 s0, v0, v4
	v_subrev_nc_u32_e32 v25, s2, v0
	s_branch .LBB63_4
.LBB63_3:                               ;   in Loop: Header=BB63_4 Depth=1
	s_or_b32 exec_lo, exec_lo, s1
	v_add_nc_u32_e32 v9, 1, v9
	s_delay_alu instid0(VALU_DEP_1) | instskip(SKIP_1) | instid1(SALU_CYCLE_1)
	v_cmp_ge_i32_e32 vcc_lo, v9, v23
	s_or_b32 s3, vcc_lo, s3
	s_and_not1_b32 exec_lo, exec_lo, s3
	s_cbranch_execz .LBB63_20
.LBB63_4:                               ; =>This Loop Header: Depth=1
                                        ;     Child Loop BB63_7 Depth 2
	v_ashrrev_i32_e32 v10, 31, v9
	s_delay_alu instid0(VALU_DEP_1) | instskip(SKIP_1) | instid1(VALU_DEP_2)
	v_lshlrev_b64 v[0:1], 2, v[9:10]
	v_lshlrev_b64 v[10:11], 4, v[9:10]
	v_add_co_u32 v0, vcc_lo, s20, v0
	s_delay_alu instid0(VALU_DEP_3) | instskip(SKIP_3) | instid1(VALU_DEP_1)
	v_add_co_ci_u32_e32 v1, vcc_lo, s21, v1, vcc_lo
	global_load_b32 v0, v[0:1], off
	s_waitcnt vmcnt(0)
	v_subrev_nc_u32_e32 v12, s2, v0
	v_ashrrev_i32_e32 v13, 31, v12
	s_delay_alu instid0(VALU_DEP_1) | instskip(SKIP_2) | instid1(VALU_DEP_3)
	v_lshlrev_b64 v[0:1], 2, v[12:13]
	v_mov_b32_e32 v13, 0
	v_mov_b32_e32 v14, 0
	v_add_co_u32 v2, vcc_lo, s6, v0
	s_delay_alu instid0(VALU_DEP_4)
	v_add_co_ci_u32_e32 v3, vcc_lo, s7, v1, vcc_lo
	v_add_co_u32 v4, vcc_lo, s12, v0
	v_add_co_ci_u32_e32 v5, vcc_lo, s13, v1, vcc_lo
	global_load_b32 v2, v[2:3], off
	v_add_co_u32 v0, vcc_lo, s10, v0
	v_add_co_ci_u32_e32 v1, vcc_lo, s11, v1, vcc_lo
	v_add_co_u32 v6, vcc_lo, s22, v10
	v_add_co_ci_u32_e32 v7, vcc_lo, s23, v11, vcc_lo
	global_load_b32 v17, v[4:5], off
	global_load_b32 v18, v[0:1], off
	v_dual_mov_b32 v16, v14 :: v_dual_mov_b32 v15, v13
	s_waitcnt vmcnt(2)
	v_subrev_nc_u32_e32 v2, s2, v2
	s_delay_alu instid0(VALU_DEP_1) | instskip(NEXT) | instid1(VALU_DEP_1)
	v_ashrrev_i32_e32 v3, 31, v2
	v_lshlrev_b64 v[2:3], 4, v[2:3]
	s_delay_alu instid0(VALU_DEP_1) | instskip(NEXT) | instid1(VALU_DEP_2)
	v_add_co_u32 v4, vcc_lo, s18, v2
	v_add_co_ci_u32_e32 v5, vcc_lo, s19, v3, vcc_lo
	s_waitcnt vmcnt(0)
	v_cmp_lt_i32_e32 vcc_lo, v18, v17
	global_load_b128 v[0:3], v[6:7], off
	global_load_b128 v[4:7], v[4:5], off
	s_and_b32 s1, s0, vcc_lo
	s_delay_alu instid0(SALU_CYCLE_1)
	s_and_saveexec_b32 s4, s1
	s_cbranch_execz .LBB63_10
; %bb.5:                                ;   in Loop: Header=BB63_4 Depth=1
	v_mov_b32_e32 v13, 0
	v_dual_mov_b32 v14, 0 :: v_dual_mov_b32 v19, v25
	v_subrev_nc_u32_e32 v26, s2, v17
	v_subrev_nc_u32_e32 v17, s2, v18
	s_mov_b32 s5, 0
	s_delay_alu instid0(VALU_DEP_3)
	v_dual_mov_b32 v16, v14 :: v_dual_mov_b32 v15, v13
	s_branch .LBB63_7
.LBB63_6:                               ;   in Loop: Header=BB63_7 Depth=2
	s_or_b32 exec_lo, exec_lo, s1
	v_cmp_le_i32_e32 vcc_lo, v18, v27
	v_add_co_ci_u32_e32 v19, vcc_lo, 0, v19, vcc_lo
	v_cmp_ge_i32_e32 vcc_lo, v18, v27
	v_add_co_ci_u32_e32 v17, vcc_lo, 0, v17, vcc_lo
	s_delay_alu instid0(VALU_DEP_3) | instskip(NEXT) | instid1(VALU_DEP_2)
	v_cmp_ge_i32_e32 vcc_lo, v19, v24
	v_cmp_ge_i32_e64 s1, v17, v26
	s_delay_alu instid0(VALU_DEP_1) | instskip(NEXT) | instid1(SALU_CYCLE_1)
	s_or_b32 s1, vcc_lo, s1
	s_and_b32 s1, exec_lo, s1
	s_delay_alu instid0(SALU_CYCLE_1) | instskip(NEXT) | instid1(SALU_CYCLE_1)
	s_or_b32 s5, s1, s5
	s_and_not1_b32 exec_lo, exec_lo, s5
	s_cbranch_execz .LBB63_9
.LBB63_7:                               ;   Parent Loop BB63_4 Depth=1
                                        ; =>  This Inner Loop Header: Depth=2
	v_ashrrev_i32_e32 v20, 31, v19
	v_ashrrev_i32_e32 v18, 31, v17
	s_mov_b32 s1, exec_lo
	s_delay_alu instid0(VALU_DEP_2) | instskip(NEXT) | instid1(VALU_DEP_2)
	v_lshlrev_b64 v[27:28], 2, v[19:20]
	v_lshlrev_b64 v[21:22], 2, v[17:18]
	s_delay_alu instid0(VALU_DEP_2) | instskip(NEXT) | instid1(VALU_DEP_3)
	v_add_co_u32 v27, vcc_lo, s8, v27
	v_add_co_ci_u32_e32 v28, vcc_lo, s9, v28, vcc_lo
	s_delay_alu instid0(VALU_DEP_3) | instskip(NEXT) | instid1(VALU_DEP_4)
	v_add_co_u32 v29, vcc_lo, s14, v21
	v_add_co_ci_u32_e32 v30, vcc_lo, s15, v22, vcc_lo
	global_load_b32 v18, v[27:28], off
	global_load_b32 v27, v[29:30], off
	s_waitcnt vmcnt(0)
	v_cmpx_eq_u32_e64 v18, v27
	s_cbranch_execz .LBB63_6
; %bb.8:                                ;   in Loop: Header=BB63_7 Depth=2
	v_add_co_u32 v21, vcc_lo, s16, v21
	v_add_co_ci_u32_e32 v22, vcc_lo, s17, v22, vcc_lo
	v_lshlrev_b64 v[28:29], 4, v[19:20]
	global_load_b32 v21, v[21:22], off
	v_add_co_u32 v28, vcc_lo, s18, v28
	v_add_co_ci_u32_e32 v29, vcc_lo, s19, v29, vcc_lo
	s_waitcnt vmcnt(0)
	v_ashrrev_i32_e32 v22, 31, v21
	s_delay_alu instid0(VALU_DEP_1) | instskip(NEXT) | instid1(VALU_DEP_1)
	v_lshlrev_b64 v[20:21], 4, v[21:22]
	v_add_co_u32 v20, vcc_lo, s18, v20
	s_delay_alu instid0(VALU_DEP_2)
	v_add_co_ci_u32_e32 v21, vcc_lo, s19, v21, vcc_lo
	s_clause 0x1
	global_load_b128 v[28:31], v[28:29], off
	global_load_b128 v[32:35], v[20:21], off
	s_waitcnt vmcnt(0)
	v_fma_f64 v[13:14], v[28:29], v[32:33], v[13:14]
	v_fma_f64 v[15:16], v[30:31], v[32:33], v[15:16]
	s_delay_alu instid0(VALU_DEP_2) | instskip(NEXT) | instid1(VALU_DEP_2)
	v_fma_f64 v[13:14], -v[30:31], v[34:35], v[13:14]
	v_fma_f64 v[15:16], v[28:29], v[34:35], v[15:16]
	s_branch .LBB63_6
.LBB63_9:                               ;   in Loop: Header=BB63_4 Depth=1
	s_or_b32 exec_lo, exec_lo, s5
.LBB63_10:                              ;   in Loop: Header=BB63_4 Depth=1
	s_delay_alu instid0(SALU_CYCLE_1)
	s_or_b32 exec_lo, exec_lo, s4
	s_waitcnt vmcnt(1)
	v_add_f64 v[0:1], v[0:1], -v[13:14]
	v_add_f64 v[2:3], v[2:3], -v[15:16]
	s_mov_b32 s1, exec_lo
	v_cmpx_gt_i32_e64 v8, v12
	s_cbranch_execz .LBB63_12
; %bb.11:                               ;   in Loop: Header=BB63_4 Depth=1
	s_waitcnt vmcnt(0)
	v_mul_f64 v[12:13], v[6:7], v[6:7]
	s_delay_alu instid0(VALU_DEP_1) | instskip(NEXT) | instid1(VALU_DEP_1)
	v_fma_f64 v[12:13], v[4:5], v[4:5], v[12:13]
	v_div_scale_f64 v[14:15], null, v[12:13], v[12:13], 1.0
	v_div_scale_f64 v[20:21], vcc_lo, 1.0, v[12:13], 1.0
	s_delay_alu instid0(VALU_DEP_2) | instskip(SKIP_2) | instid1(VALU_DEP_1)
	v_rcp_f64_e32 v[16:17], v[14:15]
	s_waitcnt_depctr 0xfff
	v_fma_f64 v[18:19], -v[14:15], v[16:17], 1.0
	v_fma_f64 v[16:17], v[16:17], v[18:19], v[16:17]
	s_delay_alu instid0(VALU_DEP_1) | instskip(NEXT) | instid1(VALU_DEP_1)
	v_fma_f64 v[18:19], -v[14:15], v[16:17], 1.0
	v_fma_f64 v[16:17], v[16:17], v[18:19], v[16:17]
	s_delay_alu instid0(VALU_DEP_1) | instskip(NEXT) | instid1(VALU_DEP_1)
	v_mul_f64 v[18:19], v[20:21], v[16:17]
	v_fma_f64 v[14:15], -v[14:15], v[18:19], v[20:21]
	s_delay_alu instid0(VALU_DEP_1) | instskip(SKIP_2) | instid1(VALU_DEP_3)
	v_div_fmas_f64 v[14:15], v[14:15], v[16:17], v[18:19]
	v_mul_f64 v[16:17], v[6:7], v[2:3]
	v_mul_f64 v[6:7], v[6:7], -v[0:1]
	v_div_fixup_f64 v[12:13], v[14:15], v[12:13], 1.0
	s_delay_alu instid0(VALU_DEP_3) | instskip(NEXT) | instid1(VALU_DEP_3)
	v_fma_f64 v[0:1], v[0:1], v[4:5], v[16:17]
	v_fma_f64 v[2:3], v[2:3], v[4:5], v[6:7]
	s_delay_alu instid0(VALU_DEP_2) | instskip(NEXT) | instid1(VALU_DEP_2)
	v_mul_f64 v[0:1], v[12:13], v[0:1]
	v_mul_f64 v[2:3], v[12:13], v[2:3]
.LBB63_12:                              ;   in Loop: Header=BB63_4 Depth=1
	s_or_b32 exec_lo, exec_lo, s1
	s_delay_alu instid0(VALU_DEP_2) | instskip(NEXT) | instid1(VALU_DEP_2)
	v_cmp_gt_f64_e32 vcc_lo, 0, v[0:1]
	v_cmp_gt_f64_e64 s1, 0, v[2:3]
	s_waitcnt vmcnt(0)
	v_xor_b32_e32 v4, 0x80000000, v1
	v_xor_b32_e32 v6, 0x80000000, v3
                                        ; implicit-def: $vgpr12_vgpr13
	s_delay_alu instid0(VALU_DEP_2) | instskip(NEXT) | instid1(VALU_DEP_2)
	v_cndmask_b32_e32 v5, v1, v4, vcc_lo
	v_cndmask_b32_e64 v7, v3, v6, s1
	v_cndmask_b32_e32 v4, v0, v0, vcc_lo
	v_cndmask_b32_e64 v6, v2, v2, s1
	s_mov_b32 s1, exec_lo
	s_delay_alu instid0(VALU_DEP_1)
	v_cmpx_ngt_f64_e32 v[4:5], v[6:7]
	s_xor_b32 s1, exec_lo, s1
	s_cbranch_execnz .LBB63_15
; %bb.13:                               ;   in Loop: Header=BB63_4 Depth=1
	s_and_not1_saveexec_b32 s1, s1
	s_cbranch_execnz .LBB63_18
.LBB63_14:                              ;   in Loop: Header=BB63_4 Depth=1
	s_or_b32 exec_lo, exec_lo, s1
	s_delay_alu instid0(VALU_DEP_1) | instskip(NEXT) | instid1(VALU_DEP_1)
	v_cmp_class_f64_e64 s4, v[12:13], 0x1f8
	s_and_saveexec_b32 s1, s4
	s_cbranch_execz .LBB63_3
	s_branch .LBB63_19
.LBB63_15:                              ;   in Loop: Header=BB63_4 Depth=1
	v_mov_b32_e32 v12, 0
	v_mov_b32_e32 v13, 0
	s_mov_b32 s4, exec_lo
	v_cmpx_neq_f64_e32 0, v[2:3]
	s_cbranch_execz .LBB63_17
; %bb.16:                               ;   in Loop: Header=BB63_4 Depth=1
	v_div_scale_f64 v[12:13], null, v[6:7], v[6:7], v[4:5]
	v_div_scale_f64 v[18:19], vcc_lo, v[4:5], v[6:7], v[4:5]
	s_delay_alu instid0(VALU_DEP_2) | instskip(SKIP_2) | instid1(VALU_DEP_1)
	v_rcp_f64_e32 v[14:15], v[12:13]
	s_waitcnt_depctr 0xfff
	v_fma_f64 v[16:17], -v[12:13], v[14:15], 1.0
	v_fma_f64 v[14:15], v[14:15], v[16:17], v[14:15]
	s_delay_alu instid0(VALU_DEP_1) | instskip(NEXT) | instid1(VALU_DEP_1)
	v_fma_f64 v[16:17], -v[12:13], v[14:15], 1.0
	v_fma_f64 v[14:15], v[14:15], v[16:17], v[14:15]
	s_delay_alu instid0(VALU_DEP_1) | instskip(NEXT) | instid1(VALU_DEP_1)
	v_mul_f64 v[16:17], v[18:19], v[14:15]
	v_fma_f64 v[12:13], -v[12:13], v[16:17], v[18:19]
	s_delay_alu instid0(VALU_DEP_1) | instskip(NEXT) | instid1(VALU_DEP_1)
	v_div_fmas_f64 v[12:13], v[12:13], v[14:15], v[16:17]
	v_div_fixup_f64 v[4:5], v[12:13], v[6:7], v[4:5]
	s_delay_alu instid0(VALU_DEP_1) | instskip(NEXT) | instid1(VALU_DEP_1)
	v_fma_f64 v[4:5], v[4:5], v[4:5], 1.0
	v_cmp_gt_f64_e32 vcc_lo, 0x10000000, v[4:5]
	v_cndmask_b32_e64 v12, 0, 1, vcc_lo
	s_delay_alu instid0(VALU_DEP_1) | instskip(NEXT) | instid1(VALU_DEP_1)
	v_lshlrev_b32_e32 v12, 8, v12
	v_ldexp_f64 v[4:5], v[4:5], v12
	s_delay_alu instid0(VALU_DEP_1) | instskip(SKIP_3) | instid1(VALU_DEP_1)
	v_rsq_f64_e32 v[12:13], v[4:5]
	s_waitcnt_depctr 0xfff
	v_mul_f64 v[14:15], v[4:5], v[12:13]
	v_mul_f64 v[12:13], v[12:13], 0.5
	v_fma_f64 v[16:17], -v[12:13], v[14:15], 0.5
	s_delay_alu instid0(VALU_DEP_1) | instskip(SKIP_1) | instid1(VALU_DEP_2)
	v_fma_f64 v[14:15], v[14:15], v[16:17], v[14:15]
	v_fma_f64 v[12:13], v[12:13], v[16:17], v[12:13]
	v_fma_f64 v[16:17], -v[14:15], v[14:15], v[4:5]
	s_delay_alu instid0(VALU_DEP_1) | instskip(NEXT) | instid1(VALU_DEP_1)
	v_fma_f64 v[14:15], v[16:17], v[12:13], v[14:15]
	v_fma_f64 v[16:17], -v[14:15], v[14:15], v[4:5]
	s_delay_alu instid0(VALU_DEP_1) | instskip(SKIP_2) | instid1(VALU_DEP_2)
	v_fma_f64 v[12:13], v[16:17], v[12:13], v[14:15]
	v_cndmask_b32_e64 v14, 0, 0xffffff80, vcc_lo
	v_cmp_class_f64_e64 vcc_lo, v[4:5], 0x260
	v_ldexp_f64 v[12:13], v[12:13], v14
	s_delay_alu instid0(VALU_DEP_1) | instskip(NEXT) | instid1(VALU_DEP_1)
	v_dual_cndmask_b32 v5, v13, v5 :: v_dual_cndmask_b32 v4, v12, v4
	v_mul_f64 v[12:13], v[6:7], v[4:5]
.LBB63_17:                              ;   in Loop: Header=BB63_4 Depth=1
	s_or_b32 exec_lo, exec_lo, s4
                                        ; implicit-def: $vgpr4_vgpr5
                                        ; implicit-def: $vgpr6_vgpr7
	s_and_not1_saveexec_b32 s1, s1
	s_cbranch_execz .LBB63_14
.LBB63_18:                              ;   in Loop: Header=BB63_4 Depth=1
	v_div_scale_f64 v[12:13], null, v[4:5], v[4:5], v[6:7]
	v_div_scale_f64 v[18:19], vcc_lo, v[6:7], v[4:5], v[6:7]
	s_delay_alu instid0(VALU_DEP_2) | instskip(SKIP_2) | instid1(VALU_DEP_1)
	v_rcp_f64_e32 v[14:15], v[12:13]
	s_waitcnt_depctr 0xfff
	v_fma_f64 v[16:17], -v[12:13], v[14:15], 1.0
	v_fma_f64 v[14:15], v[14:15], v[16:17], v[14:15]
	s_delay_alu instid0(VALU_DEP_1) | instskip(NEXT) | instid1(VALU_DEP_1)
	v_fma_f64 v[16:17], -v[12:13], v[14:15], 1.0
	v_fma_f64 v[14:15], v[14:15], v[16:17], v[14:15]
	s_delay_alu instid0(VALU_DEP_1) | instskip(NEXT) | instid1(VALU_DEP_1)
	v_mul_f64 v[16:17], v[18:19], v[14:15]
	v_fma_f64 v[12:13], -v[12:13], v[16:17], v[18:19]
	s_delay_alu instid0(VALU_DEP_1) | instskip(NEXT) | instid1(VALU_DEP_1)
	v_div_fmas_f64 v[12:13], v[12:13], v[14:15], v[16:17]
	v_div_fixup_f64 v[6:7], v[12:13], v[4:5], v[6:7]
	s_delay_alu instid0(VALU_DEP_1) | instskip(NEXT) | instid1(VALU_DEP_1)
	v_fma_f64 v[6:7], v[6:7], v[6:7], 1.0
	v_cmp_gt_f64_e32 vcc_lo, 0x10000000, v[6:7]
	v_cndmask_b32_e64 v12, 0, 1, vcc_lo
	s_delay_alu instid0(VALU_DEP_1) | instskip(NEXT) | instid1(VALU_DEP_1)
	v_lshlrev_b32_e32 v12, 8, v12
	v_ldexp_f64 v[6:7], v[6:7], v12
	s_delay_alu instid0(VALU_DEP_1) | instskip(SKIP_3) | instid1(VALU_DEP_1)
	v_rsq_f64_e32 v[12:13], v[6:7]
	s_waitcnt_depctr 0xfff
	v_mul_f64 v[14:15], v[6:7], v[12:13]
	v_mul_f64 v[12:13], v[12:13], 0.5
	v_fma_f64 v[16:17], -v[12:13], v[14:15], 0.5
	s_delay_alu instid0(VALU_DEP_1) | instskip(SKIP_1) | instid1(VALU_DEP_2)
	v_fma_f64 v[14:15], v[14:15], v[16:17], v[14:15]
	v_fma_f64 v[12:13], v[12:13], v[16:17], v[12:13]
	v_fma_f64 v[16:17], -v[14:15], v[14:15], v[6:7]
	s_delay_alu instid0(VALU_DEP_1) | instskip(NEXT) | instid1(VALU_DEP_1)
	v_fma_f64 v[14:15], v[16:17], v[12:13], v[14:15]
	v_fma_f64 v[16:17], -v[14:15], v[14:15], v[6:7]
	s_delay_alu instid0(VALU_DEP_1) | instskip(SKIP_2) | instid1(VALU_DEP_2)
	v_fma_f64 v[12:13], v[16:17], v[12:13], v[14:15]
	v_cndmask_b32_e64 v14, 0, 0xffffff80, vcc_lo
	v_cmp_class_f64_e64 vcc_lo, v[6:7], 0x260
	v_ldexp_f64 v[12:13], v[12:13], v14
	s_delay_alu instid0(VALU_DEP_1) | instskip(NEXT) | instid1(VALU_DEP_1)
	v_dual_cndmask_b32 v7, v13, v7 :: v_dual_cndmask_b32 v6, v12, v6
	v_mul_f64 v[12:13], v[4:5], v[6:7]
	s_or_b32 exec_lo, exec_lo, s1
	s_delay_alu instid0(VALU_DEP_1) | instskip(NEXT) | instid1(VALU_DEP_1)
	v_cmp_class_f64_e64 s4, v[12:13], 0x1f8
	s_and_saveexec_b32 s1, s4
	s_cbranch_execz .LBB63_3
.LBB63_19:                              ;   in Loop: Header=BB63_4 Depth=1
	v_add_co_u32 v4, vcc_lo, s18, v10
	v_add_co_ci_u32_e32 v5, vcc_lo, s19, v11, vcc_lo
	global_store_b128 v[4:5], v[0:3], off
	s_branch .LBB63_3
.LBB63_20:
	s_nop 0
	s_sendmsg sendmsg(MSG_DEALLOC_VGPRS)
	s_endpgm
	.section	.rodata,"a",@progbits
	.p2align	6, 0x0
	.amdhsa_kernel _ZN9rocsparseL16kernel_calculateILi1024ELi1ELb0E21rocsparse_complex_numIdEiiEEvT4_T3_PKS4_S6_PKS3_PKT2_21rocsparse_index_base_S6_S6_S8_S6_S6_S8_S6_PS9_PNS_15floating_traitsIS9_E6data_tEPKSG_
		.amdhsa_group_segment_fixed_size 0
		.amdhsa_private_segment_fixed_size 0
		.amdhsa_kernarg_size 128
		.amdhsa_user_sgpr_count 15
		.amdhsa_user_sgpr_dispatch_ptr 0
		.amdhsa_user_sgpr_queue_ptr 0
		.amdhsa_user_sgpr_kernarg_segment_ptr 1
		.amdhsa_user_sgpr_dispatch_id 0
		.amdhsa_user_sgpr_private_segment_size 0
		.amdhsa_wavefront_size32 1
		.amdhsa_uses_dynamic_stack 0
		.amdhsa_enable_private_segment 0
		.amdhsa_system_sgpr_workgroup_id_x 1
		.amdhsa_system_sgpr_workgroup_id_y 0
		.amdhsa_system_sgpr_workgroup_id_z 0
		.amdhsa_system_sgpr_workgroup_info 0
		.amdhsa_system_vgpr_workitem_id 0
		.amdhsa_next_free_vgpr 36
		.amdhsa_next_free_sgpr 24
		.amdhsa_reserve_vcc 1
		.amdhsa_float_round_mode_32 0
		.amdhsa_float_round_mode_16_64 0
		.amdhsa_float_denorm_mode_32 3
		.amdhsa_float_denorm_mode_16_64 3
		.amdhsa_dx10_clamp 1
		.amdhsa_ieee_mode 1
		.amdhsa_fp16_overflow 0
		.amdhsa_workgroup_processor_mode 1
		.amdhsa_memory_ordered 1
		.amdhsa_forward_progress 0
		.amdhsa_shared_vgpr_count 0
		.amdhsa_exception_fp_ieee_invalid_op 0
		.amdhsa_exception_fp_denorm_src 0
		.amdhsa_exception_fp_ieee_div_zero 0
		.amdhsa_exception_fp_ieee_overflow 0
		.amdhsa_exception_fp_ieee_underflow 0
		.amdhsa_exception_fp_ieee_inexact 0
		.amdhsa_exception_int_div_zero 0
	.end_amdhsa_kernel
	.section	.text._ZN9rocsparseL16kernel_calculateILi1024ELi1ELb0E21rocsparse_complex_numIdEiiEEvT4_T3_PKS4_S6_PKS3_PKT2_21rocsparse_index_base_S6_S6_S8_S6_S6_S8_S6_PS9_PNS_15floating_traitsIS9_E6data_tEPKSG_,"axG",@progbits,_ZN9rocsparseL16kernel_calculateILi1024ELi1ELb0E21rocsparse_complex_numIdEiiEEvT4_T3_PKS4_S6_PKS3_PKT2_21rocsparse_index_base_S6_S6_S8_S6_S6_S8_S6_PS9_PNS_15floating_traitsIS9_E6data_tEPKSG_,comdat
.Lfunc_end63:
	.size	_ZN9rocsparseL16kernel_calculateILi1024ELi1ELb0E21rocsparse_complex_numIdEiiEEvT4_T3_PKS4_S6_PKS3_PKT2_21rocsparse_index_base_S6_S6_S8_S6_S6_S8_S6_PS9_PNS_15floating_traitsIS9_E6data_tEPKSG_, .Lfunc_end63-_ZN9rocsparseL16kernel_calculateILi1024ELi1ELb0E21rocsparse_complex_numIdEiiEEvT4_T3_PKS4_S6_PKS3_PKT2_21rocsparse_index_base_S6_S6_S8_S6_S6_S8_S6_PS9_PNS_15floating_traitsIS9_E6data_tEPKSG_
                                        ; -- End function
	.section	.AMDGPU.csdata,"",@progbits
; Kernel info:
; codeLenInByte = 1908
; NumSgprs: 26
; NumVgprs: 36
; ScratchSize: 0
; MemoryBound: 1
; FloatMode: 240
; IeeeMode: 1
; LDSByteSize: 0 bytes/workgroup (compile time only)
; SGPRBlocks: 3
; VGPRBlocks: 4
; NumSGPRsForWavesPerEU: 26
; NumVGPRsForWavesPerEU: 36
; Occupancy: 16
; WaveLimiterHint : 1
; COMPUTE_PGM_RSRC2:SCRATCH_EN: 0
; COMPUTE_PGM_RSRC2:USER_SGPR: 15
; COMPUTE_PGM_RSRC2:TRAP_HANDLER: 0
; COMPUTE_PGM_RSRC2:TGID_X_EN: 1
; COMPUTE_PGM_RSRC2:TGID_Y_EN: 0
; COMPUTE_PGM_RSRC2:TGID_Z_EN: 0
; COMPUTE_PGM_RSRC2:TIDIG_COMP_CNT: 0
	.section	.text._ZN9rocsparseL16kernel_calculateILi1024ELi2ELb0E21rocsparse_complex_numIdEiiEEvT4_T3_PKS4_S6_PKS3_PKT2_21rocsparse_index_base_S6_S6_S8_S6_S6_S8_S6_PS9_PNS_15floating_traitsIS9_E6data_tEPKSG_,"axG",@progbits,_ZN9rocsparseL16kernel_calculateILi1024ELi2ELb0E21rocsparse_complex_numIdEiiEEvT4_T3_PKS4_S6_PKS3_PKT2_21rocsparse_index_base_S6_S6_S8_S6_S6_S8_S6_PS9_PNS_15floating_traitsIS9_E6data_tEPKSG_,comdat
	.globl	_ZN9rocsparseL16kernel_calculateILi1024ELi2ELb0E21rocsparse_complex_numIdEiiEEvT4_T3_PKS4_S6_PKS3_PKT2_21rocsparse_index_base_S6_S6_S8_S6_S6_S8_S6_PS9_PNS_15floating_traitsIS9_E6data_tEPKSG_ ; -- Begin function _ZN9rocsparseL16kernel_calculateILi1024ELi2ELb0E21rocsparse_complex_numIdEiiEEvT4_T3_PKS4_S6_PKS3_PKT2_21rocsparse_index_base_S6_S6_S8_S6_S6_S8_S6_PS9_PNS_15floating_traitsIS9_E6data_tEPKSG_
	.p2align	8
	.type	_ZN9rocsparseL16kernel_calculateILi1024ELi2ELb0E21rocsparse_complex_numIdEiiEEvT4_T3_PKS4_S6_PKS3_PKT2_21rocsparse_index_base_S6_S6_S8_S6_S6_S8_S6_PS9_PNS_15floating_traitsIS9_E6data_tEPKSG_,@function
_ZN9rocsparseL16kernel_calculateILi1024ELi2ELb0E21rocsparse_complex_numIdEiiEEvT4_T3_PKS4_S6_PKS3_PKT2_21rocsparse_index_base_S6_S6_S8_S6_S6_S8_S6_PS9_PNS_15floating_traitsIS9_E6data_tEPKSG_: ; @_ZN9rocsparseL16kernel_calculateILi1024ELi2ELb0E21rocsparse_complex_numIdEiiEEvT4_T3_PKS4_S6_PKS3_PKT2_21rocsparse_index_base_S6_S6_S8_S6_S6_S8_S6_PS9_PNS_15floating_traitsIS9_E6data_tEPKSG_
; %bb.0:
	s_load_b32 s3, s[0:1], 0x0
	v_lshrrev_b32_e32 v1, 1, v0
	s_mov_b32 s2, exec_lo
	s_delay_alu instid0(VALU_DEP_1) | instskip(SKIP_1) | instid1(VALU_DEP_1)
	v_lshl_or_b32 v8, s15, 10, v1
	s_waitcnt lgkmcnt(0)
	v_cmpx_gt_i32_e64 s3, v8
	s_cbranch_execz .LBB64_40
; %bb.1:
	s_load_b256 s[4:11], s[0:1], 0x8
	v_ashrrev_i32_e32 v9, 31, v8
	v_and_b32_e32 v0, 1, v0
	s_delay_alu instid0(VALU_DEP_2) | instskip(SKIP_1) | instid1(VALU_DEP_1)
	v_lshlrev_b64 v[9:10], 2, v[8:9]
	s_waitcnt lgkmcnt(0)
	v_add_co_u32 v11, vcc_lo, s6, v9
	s_delay_alu instid0(VALU_DEP_2)
	v_add_co_ci_u32_e32 v12, vcc_lo, s7, v10, vcc_lo
	v_add_co_u32 v13, vcc_lo, s4, v9
	v_add_co_ci_u32_e32 v14, vcc_lo, s5, v10, vcc_lo
	s_mov_b32 s4, exec_lo
	global_load_b32 v1, v[11:12], off
	global_load_b32 v2, v[13:14], off
	s_clause 0x2
	s_load_b32 s2, s[0:1], 0x28
	s_load_b256 s[12:19], s[0:1], 0x50
	s_load_b256 s[20:27], s[0:1], 0x30
	s_waitcnt lgkmcnt(0)
	v_subrev_nc_u32_e32 v29, s2, v0
	s_waitcnt vmcnt(1)
	v_subrev_nc_u32_e32 v30, s2, v1
	s_waitcnt vmcnt(0)
	s_delay_alu instid0(VALU_DEP_2) | instskip(NEXT) | instid1(VALU_DEP_1)
	v_add_nc_u32_e32 v15, v29, v2
	v_cmpx_lt_i32_e64 v15, v30
	s_cbranch_execz .LBB64_20
; %bb.2:
	v_add_co_u32 v0, vcc_lo, s22, v9
	v_add_co_ci_u32_e32 v1, vcc_lo, s23, v10, vcc_lo
	v_add_co_u32 v2, vcc_lo, s20, v9
	v_add_co_ci_u32_e32 v3, vcc_lo, s21, v10, vcc_lo
	s_mov_b32 s5, 0
	global_load_b32 v0, v[0:1], off
	global_load_b32 v1, v[2:3], off
	s_waitcnt vmcnt(1)
	v_subrev_nc_u32_e32 v31, s2, v0
	s_waitcnt vmcnt(0)
	v_cmp_lt_i32_e64 s0, v1, v0
	v_subrev_nc_u32_e32 v32, s2, v1
	s_branch .LBB64_4
.LBB64_3:                               ;   in Loop: Header=BB64_4 Depth=1
	s_or_b32 exec_lo, exec_lo, s1
	v_add_nc_u32_e32 v15, 2, v15
	s_delay_alu instid0(VALU_DEP_1) | instskip(SKIP_1) | instid1(SALU_CYCLE_1)
	v_cmp_ge_i32_e32 vcc_lo, v15, v30
	s_or_b32 s5, vcc_lo, s5
	s_and_not1_b32 exec_lo, exec_lo, s5
	s_cbranch_execz .LBB64_20
.LBB64_4:                               ; =>This Loop Header: Depth=1
                                        ;     Child Loop BB64_7 Depth 2
	v_ashrrev_i32_e32 v16, 31, v15
	s_delay_alu instid0(VALU_DEP_1) | instskip(SKIP_1) | instid1(VALU_DEP_2)
	v_lshlrev_b64 v[0:1], 2, v[15:16]
	v_lshlrev_b64 v[16:17], 4, v[15:16]
	v_add_co_u32 v0, vcc_lo, s8, v0
	s_delay_alu instid0(VALU_DEP_3) | instskip(SKIP_3) | instid1(VALU_DEP_1)
	v_add_co_ci_u32_e32 v1, vcc_lo, s9, v1, vcc_lo
	global_load_b32 v0, v[0:1], off
	s_waitcnt vmcnt(0)
	v_subrev_nc_u32_e32 v18, s2, v0
	v_ashrrev_i32_e32 v19, 31, v18
	s_delay_alu instid0(VALU_DEP_1) | instskip(SKIP_2) | instid1(VALU_DEP_3)
	v_lshlrev_b64 v[0:1], 2, v[18:19]
	v_mov_b32_e32 v19, 0
	v_mov_b32_e32 v20, 0
	v_add_co_u32 v2, vcc_lo, s22, v0
	s_delay_alu instid0(VALU_DEP_4)
	v_add_co_ci_u32_e32 v3, vcc_lo, s23, v1, vcc_lo
	v_add_co_u32 v4, vcc_lo, s12, v0
	v_add_co_ci_u32_e32 v5, vcc_lo, s13, v1, vcc_lo
	global_load_b32 v2, v[2:3], off
	v_add_co_u32 v0, vcc_lo, s26, v0
	v_add_co_ci_u32_e32 v1, vcc_lo, s27, v1, vcc_lo
	v_add_co_u32 v6, vcc_lo, s10, v16
	v_add_co_ci_u32_e32 v7, vcc_lo, s11, v17, vcc_lo
	global_load_b32 v23, v[4:5], off
	global_load_b32 v24, v[0:1], off
	v_dual_mov_b32 v22, v20 :: v_dual_mov_b32 v21, v19
	s_waitcnt vmcnt(2)
	v_subrev_nc_u32_e32 v2, s2, v2
	s_delay_alu instid0(VALU_DEP_1) | instskip(NEXT) | instid1(VALU_DEP_1)
	v_ashrrev_i32_e32 v3, 31, v2
	v_lshlrev_b64 v[2:3], 4, v[2:3]
	s_delay_alu instid0(VALU_DEP_1) | instskip(NEXT) | instid1(VALU_DEP_2)
	v_add_co_u32 v4, vcc_lo, s18, v2
	v_add_co_ci_u32_e32 v5, vcc_lo, s19, v3, vcc_lo
	s_waitcnt vmcnt(0)
	v_cmp_lt_i32_e32 vcc_lo, v24, v23
	global_load_b128 v[0:3], v[6:7], off
	global_load_b128 v[4:7], v[4:5], off
	s_and_b32 s1, s0, vcc_lo
	s_delay_alu instid0(SALU_CYCLE_1)
	s_and_saveexec_b32 s6, s1
	s_cbranch_execz .LBB64_10
; %bb.5:                                ;   in Loop: Header=BB64_4 Depth=1
	v_mov_b32_e32 v19, 0
	v_dual_mov_b32 v20, 0 :: v_dual_mov_b32 v25, v32
	v_subrev_nc_u32_e32 v33, s2, v23
	v_subrev_nc_u32_e32 v23, s2, v24
	s_mov_b32 s7, 0
	s_delay_alu instid0(VALU_DEP_3)
	v_dual_mov_b32 v22, v20 :: v_dual_mov_b32 v21, v19
	s_branch .LBB64_7
.LBB64_6:                               ;   in Loop: Header=BB64_7 Depth=2
	s_or_b32 exec_lo, exec_lo, s1
	v_cmp_le_i32_e32 vcc_lo, v24, v34
	v_add_co_ci_u32_e32 v25, vcc_lo, 0, v25, vcc_lo
	v_cmp_ge_i32_e32 vcc_lo, v24, v34
	v_add_co_ci_u32_e32 v23, vcc_lo, 0, v23, vcc_lo
	s_delay_alu instid0(VALU_DEP_3) | instskip(NEXT) | instid1(VALU_DEP_2)
	v_cmp_ge_i32_e32 vcc_lo, v25, v31
	v_cmp_ge_i32_e64 s1, v23, v33
	s_delay_alu instid0(VALU_DEP_1) | instskip(NEXT) | instid1(SALU_CYCLE_1)
	s_or_b32 s1, vcc_lo, s1
	s_and_b32 s1, exec_lo, s1
	s_delay_alu instid0(SALU_CYCLE_1) | instskip(NEXT) | instid1(SALU_CYCLE_1)
	s_or_b32 s7, s1, s7
	s_and_not1_b32 exec_lo, exec_lo, s7
	s_cbranch_execz .LBB64_9
.LBB64_7:                               ;   Parent Loop BB64_4 Depth=1
                                        ; =>  This Inner Loop Header: Depth=2
	v_ashrrev_i32_e32 v26, 31, v25
	v_ashrrev_i32_e32 v24, 31, v23
	s_mov_b32 s1, exec_lo
	s_delay_alu instid0(VALU_DEP_2) | instskip(NEXT) | instid1(VALU_DEP_2)
	v_lshlrev_b64 v[34:35], 2, v[25:26]
	v_lshlrev_b64 v[27:28], 2, v[23:24]
	s_delay_alu instid0(VALU_DEP_2) | instskip(NEXT) | instid1(VALU_DEP_3)
	v_add_co_u32 v34, vcc_lo, s24, v34
	v_add_co_ci_u32_e32 v35, vcc_lo, s25, v35, vcc_lo
	s_delay_alu instid0(VALU_DEP_3) | instskip(NEXT) | instid1(VALU_DEP_4)
	v_add_co_u32 v36, vcc_lo, s14, v27
	v_add_co_ci_u32_e32 v37, vcc_lo, s15, v28, vcc_lo
	global_load_b32 v24, v[34:35], off
	global_load_b32 v34, v[36:37], off
	s_waitcnt vmcnt(0)
	v_cmpx_eq_u32_e64 v24, v34
	s_cbranch_execz .LBB64_6
; %bb.8:                                ;   in Loop: Header=BB64_7 Depth=2
	v_add_co_u32 v27, vcc_lo, s16, v27
	v_add_co_ci_u32_e32 v28, vcc_lo, s17, v28, vcc_lo
	v_lshlrev_b64 v[35:36], 4, v[25:26]
	global_load_b32 v27, v[27:28], off
	v_add_co_u32 v35, vcc_lo, s18, v35
	v_add_co_ci_u32_e32 v36, vcc_lo, s19, v36, vcc_lo
	s_waitcnt vmcnt(0)
	v_ashrrev_i32_e32 v28, 31, v27
	s_delay_alu instid0(VALU_DEP_1) | instskip(NEXT) | instid1(VALU_DEP_1)
	v_lshlrev_b64 v[26:27], 4, v[27:28]
	v_add_co_u32 v26, vcc_lo, s18, v26
	s_delay_alu instid0(VALU_DEP_2)
	v_add_co_ci_u32_e32 v27, vcc_lo, s19, v27, vcc_lo
	s_clause 0x1
	global_load_b128 v[35:38], v[35:36], off
	global_load_b128 v[39:42], v[26:27], off
	s_waitcnt vmcnt(0)
	v_fma_f64 v[19:20], v[35:36], v[39:40], v[19:20]
	v_fma_f64 v[21:22], v[37:38], v[39:40], v[21:22]
	s_delay_alu instid0(VALU_DEP_2) | instskip(NEXT) | instid1(VALU_DEP_2)
	v_fma_f64 v[19:20], -v[37:38], v[41:42], v[19:20]
	v_fma_f64 v[21:22], v[35:36], v[41:42], v[21:22]
	s_branch .LBB64_6
.LBB64_9:                               ;   in Loop: Header=BB64_4 Depth=1
	s_or_b32 exec_lo, exec_lo, s7
.LBB64_10:                              ;   in Loop: Header=BB64_4 Depth=1
	s_delay_alu instid0(SALU_CYCLE_1)
	s_or_b32 exec_lo, exec_lo, s6
	s_waitcnt vmcnt(1)
	v_add_f64 v[0:1], v[0:1], -v[19:20]
	v_add_f64 v[2:3], v[2:3], -v[21:22]
	s_mov_b32 s1, exec_lo
	v_cmpx_gt_i32_e64 v8, v18
	s_cbranch_execz .LBB64_12
; %bb.11:                               ;   in Loop: Header=BB64_4 Depth=1
	s_waitcnt vmcnt(0)
	v_mul_f64 v[18:19], v[6:7], v[6:7]
	s_delay_alu instid0(VALU_DEP_1) | instskip(NEXT) | instid1(VALU_DEP_1)
	v_fma_f64 v[18:19], v[4:5], v[4:5], v[18:19]
	v_div_scale_f64 v[20:21], null, v[18:19], v[18:19], 1.0
	v_div_scale_f64 v[26:27], vcc_lo, 1.0, v[18:19], 1.0
	s_delay_alu instid0(VALU_DEP_2) | instskip(SKIP_2) | instid1(VALU_DEP_1)
	v_rcp_f64_e32 v[22:23], v[20:21]
	s_waitcnt_depctr 0xfff
	v_fma_f64 v[24:25], -v[20:21], v[22:23], 1.0
	v_fma_f64 v[22:23], v[22:23], v[24:25], v[22:23]
	s_delay_alu instid0(VALU_DEP_1) | instskip(NEXT) | instid1(VALU_DEP_1)
	v_fma_f64 v[24:25], -v[20:21], v[22:23], 1.0
	v_fma_f64 v[22:23], v[22:23], v[24:25], v[22:23]
	s_delay_alu instid0(VALU_DEP_1) | instskip(NEXT) | instid1(VALU_DEP_1)
	v_mul_f64 v[24:25], v[26:27], v[22:23]
	v_fma_f64 v[20:21], -v[20:21], v[24:25], v[26:27]
	s_delay_alu instid0(VALU_DEP_1) | instskip(SKIP_2) | instid1(VALU_DEP_3)
	v_div_fmas_f64 v[20:21], v[20:21], v[22:23], v[24:25]
	v_mul_f64 v[22:23], v[6:7], v[2:3]
	v_mul_f64 v[6:7], v[6:7], -v[0:1]
	v_div_fixup_f64 v[18:19], v[20:21], v[18:19], 1.0
	s_delay_alu instid0(VALU_DEP_3) | instskip(NEXT) | instid1(VALU_DEP_3)
	v_fma_f64 v[0:1], v[0:1], v[4:5], v[22:23]
	v_fma_f64 v[2:3], v[2:3], v[4:5], v[6:7]
	s_delay_alu instid0(VALU_DEP_2) | instskip(NEXT) | instid1(VALU_DEP_2)
	v_mul_f64 v[0:1], v[18:19], v[0:1]
	v_mul_f64 v[2:3], v[18:19], v[2:3]
.LBB64_12:                              ;   in Loop: Header=BB64_4 Depth=1
	s_or_b32 exec_lo, exec_lo, s1
	s_delay_alu instid0(VALU_DEP_2) | instskip(NEXT) | instid1(VALU_DEP_2)
	v_cmp_gt_f64_e32 vcc_lo, 0, v[0:1]
	v_cmp_gt_f64_e64 s1, 0, v[2:3]
	s_waitcnt vmcnt(0)
	v_xor_b32_e32 v4, 0x80000000, v1
	v_xor_b32_e32 v6, 0x80000000, v3
                                        ; implicit-def: $vgpr18_vgpr19
	s_delay_alu instid0(VALU_DEP_2) | instskip(NEXT) | instid1(VALU_DEP_2)
	v_cndmask_b32_e32 v5, v1, v4, vcc_lo
	v_cndmask_b32_e64 v7, v3, v6, s1
	v_cndmask_b32_e32 v4, v0, v0, vcc_lo
	v_cndmask_b32_e64 v6, v2, v2, s1
	s_mov_b32 s1, exec_lo
	s_delay_alu instid0(VALU_DEP_1)
	v_cmpx_ngt_f64_e32 v[4:5], v[6:7]
	s_xor_b32 s1, exec_lo, s1
	s_cbranch_execnz .LBB64_15
; %bb.13:                               ;   in Loop: Header=BB64_4 Depth=1
	s_and_not1_saveexec_b32 s1, s1
	s_cbranch_execnz .LBB64_18
.LBB64_14:                              ;   in Loop: Header=BB64_4 Depth=1
	s_or_b32 exec_lo, exec_lo, s1
	s_delay_alu instid0(VALU_DEP_1) | instskip(NEXT) | instid1(VALU_DEP_1)
	v_cmp_class_f64_e64 s6, v[18:19], 0x1f8
	s_and_saveexec_b32 s1, s6
	s_cbranch_execz .LBB64_3
	s_branch .LBB64_19
.LBB64_15:                              ;   in Loop: Header=BB64_4 Depth=1
	v_mov_b32_e32 v18, 0
	v_mov_b32_e32 v19, 0
	s_mov_b32 s6, exec_lo
	v_cmpx_neq_f64_e32 0, v[2:3]
	s_cbranch_execz .LBB64_17
; %bb.16:                               ;   in Loop: Header=BB64_4 Depth=1
	v_div_scale_f64 v[18:19], null, v[6:7], v[6:7], v[4:5]
	v_div_scale_f64 v[24:25], vcc_lo, v[4:5], v[6:7], v[4:5]
	s_delay_alu instid0(VALU_DEP_2) | instskip(SKIP_2) | instid1(VALU_DEP_1)
	v_rcp_f64_e32 v[20:21], v[18:19]
	s_waitcnt_depctr 0xfff
	v_fma_f64 v[22:23], -v[18:19], v[20:21], 1.0
	v_fma_f64 v[20:21], v[20:21], v[22:23], v[20:21]
	s_delay_alu instid0(VALU_DEP_1) | instskip(NEXT) | instid1(VALU_DEP_1)
	v_fma_f64 v[22:23], -v[18:19], v[20:21], 1.0
	v_fma_f64 v[20:21], v[20:21], v[22:23], v[20:21]
	s_delay_alu instid0(VALU_DEP_1) | instskip(NEXT) | instid1(VALU_DEP_1)
	v_mul_f64 v[22:23], v[24:25], v[20:21]
	v_fma_f64 v[18:19], -v[18:19], v[22:23], v[24:25]
	s_delay_alu instid0(VALU_DEP_1) | instskip(NEXT) | instid1(VALU_DEP_1)
	v_div_fmas_f64 v[18:19], v[18:19], v[20:21], v[22:23]
	v_div_fixup_f64 v[4:5], v[18:19], v[6:7], v[4:5]
	s_delay_alu instid0(VALU_DEP_1) | instskip(NEXT) | instid1(VALU_DEP_1)
	v_fma_f64 v[4:5], v[4:5], v[4:5], 1.0
	v_cmp_gt_f64_e32 vcc_lo, 0x10000000, v[4:5]
	v_cndmask_b32_e64 v18, 0, 1, vcc_lo
	s_delay_alu instid0(VALU_DEP_1) | instskip(NEXT) | instid1(VALU_DEP_1)
	v_lshlrev_b32_e32 v18, 8, v18
	v_ldexp_f64 v[4:5], v[4:5], v18
	s_delay_alu instid0(VALU_DEP_1) | instskip(SKIP_3) | instid1(VALU_DEP_1)
	v_rsq_f64_e32 v[18:19], v[4:5]
	s_waitcnt_depctr 0xfff
	v_mul_f64 v[20:21], v[4:5], v[18:19]
	v_mul_f64 v[18:19], v[18:19], 0.5
	v_fma_f64 v[22:23], -v[18:19], v[20:21], 0.5
	s_delay_alu instid0(VALU_DEP_1) | instskip(SKIP_1) | instid1(VALU_DEP_2)
	v_fma_f64 v[20:21], v[20:21], v[22:23], v[20:21]
	v_fma_f64 v[18:19], v[18:19], v[22:23], v[18:19]
	v_fma_f64 v[22:23], -v[20:21], v[20:21], v[4:5]
	s_delay_alu instid0(VALU_DEP_1) | instskip(NEXT) | instid1(VALU_DEP_1)
	v_fma_f64 v[20:21], v[22:23], v[18:19], v[20:21]
	v_fma_f64 v[22:23], -v[20:21], v[20:21], v[4:5]
	s_delay_alu instid0(VALU_DEP_1) | instskip(SKIP_2) | instid1(VALU_DEP_2)
	v_fma_f64 v[18:19], v[22:23], v[18:19], v[20:21]
	v_cndmask_b32_e64 v20, 0, 0xffffff80, vcc_lo
	v_cmp_class_f64_e64 vcc_lo, v[4:5], 0x260
	v_ldexp_f64 v[18:19], v[18:19], v20
	s_delay_alu instid0(VALU_DEP_1) | instskip(NEXT) | instid1(VALU_DEP_1)
	v_dual_cndmask_b32 v5, v19, v5 :: v_dual_cndmask_b32 v4, v18, v4
	v_mul_f64 v[18:19], v[6:7], v[4:5]
.LBB64_17:                              ;   in Loop: Header=BB64_4 Depth=1
	s_or_b32 exec_lo, exec_lo, s6
                                        ; implicit-def: $vgpr4_vgpr5
                                        ; implicit-def: $vgpr6_vgpr7
	s_and_not1_saveexec_b32 s1, s1
	s_cbranch_execz .LBB64_14
.LBB64_18:                              ;   in Loop: Header=BB64_4 Depth=1
	v_div_scale_f64 v[18:19], null, v[4:5], v[4:5], v[6:7]
	v_div_scale_f64 v[24:25], vcc_lo, v[6:7], v[4:5], v[6:7]
	s_delay_alu instid0(VALU_DEP_2) | instskip(SKIP_2) | instid1(VALU_DEP_1)
	v_rcp_f64_e32 v[20:21], v[18:19]
	s_waitcnt_depctr 0xfff
	v_fma_f64 v[22:23], -v[18:19], v[20:21], 1.0
	v_fma_f64 v[20:21], v[20:21], v[22:23], v[20:21]
	s_delay_alu instid0(VALU_DEP_1) | instskip(NEXT) | instid1(VALU_DEP_1)
	v_fma_f64 v[22:23], -v[18:19], v[20:21], 1.0
	v_fma_f64 v[20:21], v[20:21], v[22:23], v[20:21]
	s_delay_alu instid0(VALU_DEP_1) | instskip(NEXT) | instid1(VALU_DEP_1)
	v_mul_f64 v[22:23], v[24:25], v[20:21]
	v_fma_f64 v[18:19], -v[18:19], v[22:23], v[24:25]
	s_delay_alu instid0(VALU_DEP_1) | instskip(NEXT) | instid1(VALU_DEP_1)
	v_div_fmas_f64 v[18:19], v[18:19], v[20:21], v[22:23]
	v_div_fixup_f64 v[6:7], v[18:19], v[4:5], v[6:7]
	s_delay_alu instid0(VALU_DEP_1) | instskip(NEXT) | instid1(VALU_DEP_1)
	v_fma_f64 v[6:7], v[6:7], v[6:7], 1.0
	v_cmp_gt_f64_e32 vcc_lo, 0x10000000, v[6:7]
	v_cndmask_b32_e64 v18, 0, 1, vcc_lo
	s_delay_alu instid0(VALU_DEP_1) | instskip(NEXT) | instid1(VALU_DEP_1)
	v_lshlrev_b32_e32 v18, 8, v18
	v_ldexp_f64 v[6:7], v[6:7], v18
	s_delay_alu instid0(VALU_DEP_1) | instskip(SKIP_3) | instid1(VALU_DEP_1)
	v_rsq_f64_e32 v[18:19], v[6:7]
	s_waitcnt_depctr 0xfff
	v_mul_f64 v[20:21], v[6:7], v[18:19]
	v_mul_f64 v[18:19], v[18:19], 0.5
	v_fma_f64 v[22:23], -v[18:19], v[20:21], 0.5
	s_delay_alu instid0(VALU_DEP_1) | instskip(SKIP_1) | instid1(VALU_DEP_2)
	v_fma_f64 v[20:21], v[20:21], v[22:23], v[20:21]
	v_fma_f64 v[18:19], v[18:19], v[22:23], v[18:19]
	v_fma_f64 v[22:23], -v[20:21], v[20:21], v[6:7]
	s_delay_alu instid0(VALU_DEP_1) | instskip(NEXT) | instid1(VALU_DEP_1)
	v_fma_f64 v[20:21], v[22:23], v[18:19], v[20:21]
	v_fma_f64 v[22:23], -v[20:21], v[20:21], v[6:7]
	s_delay_alu instid0(VALU_DEP_1) | instskip(SKIP_2) | instid1(VALU_DEP_2)
	v_fma_f64 v[18:19], v[22:23], v[18:19], v[20:21]
	v_cndmask_b32_e64 v20, 0, 0xffffff80, vcc_lo
	v_cmp_class_f64_e64 vcc_lo, v[6:7], 0x260
	v_ldexp_f64 v[18:19], v[18:19], v20
	s_delay_alu instid0(VALU_DEP_1) | instskip(NEXT) | instid1(VALU_DEP_1)
	v_dual_cndmask_b32 v7, v19, v7 :: v_dual_cndmask_b32 v6, v18, v6
	v_mul_f64 v[18:19], v[4:5], v[6:7]
	s_or_b32 exec_lo, exec_lo, s1
	s_delay_alu instid0(VALU_DEP_1) | instskip(NEXT) | instid1(VALU_DEP_1)
	v_cmp_class_f64_e64 s6, v[18:19], 0x1f8
	s_and_saveexec_b32 s1, s6
	s_cbranch_execz .LBB64_3
.LBB64_19:                              ;   in Loop: Header=BB64_4 Depth=1
	v_add_co_u32 v4, vcc_lo, s18, v16
	v_add_co_ci_u32_e32 v5, vcc_lo, s19, v17, vcc_lo
	global_store_b128 v[4:5], v[0:3], off
	s_branch .LBB64_3
.LBB64_20:
	s_or_b32 exec_lo, exec_lo, s4
	v_or_b32_e32 v22, 0x200, v8
	s_delay_alu instid0(VALU_DEP_1)
	v_cmp_gt_i32_e32 vcc_lo, s3, v22
	s_and_b32 exec_lo, exec_lo, vcc_lo
	s_cbranch_execz .LBB64_40
; %bb.21:
	global_load_b32 v0, v[11:12], off offset:2048
	global_load_b32 v1, v[13:14], off offset:2048
	s_waitcnt vmcnt(1)
	v_subrev_nc_u32_e32 v23, s2, v0
	s_waitcnt vmcnt(0)
	v_add_nc_u32_e32 v8, v29, v1
	s_delay_alu instid0(VALU_DEP_1)
	v_cmp_lt_i32_e32 vcc_lo, v8, v23
	s_and_b32 exec_lo, exec_lo, vcc_lo
	s_cbranch_execz .LBB64_40
; %bb.22:
	v_add_co_u32 v0, vcc_lo, s22, v9
	v_add_co_ci_u32_e32 v1, vcc_lo, s23, v10, vcc_lo
	v_add_co_u32 v2, vcc_lo, s20, v9
	v_add_co_ci_u32_e32 v3, vcc_lo, s21, v10, vcc_lo
	s_mov_b32 s3, 0
	global_load_b32 v0, v[0:1], off offset:2048
	global_load_b32 v1, v[2:3], off offset:2048
	s_waitcnt vmcnt(1)
	v_subrev_nc_u32_e32 v24, s2, v0
	s_waitcnt vmcnt(0)
	v_cmp_lt_i32_e64 s0, v1, v0
	v_subrev_nc_u32_e32 v25, s2, v1
	s_branch .LBB64_24
.LBB64_23:                              ;   in Loop: Header=BB64_24 Depth=1
	s_or_b32 exec_lo, exec_lo, s1
	v_add_nc_u32_e32 v8, 2, v8
	s_delay_alu instid0(VALU_DEP_1) | instskip(SKIP_1) | instid1(SALU_CYCLE_1)
	v_cmp_ge_i32_e32 vcc_lo, v8, v23
	s_or_b32 s3, vcc_lo, s3
	s_and_not1_b32 exec_lo, exec_lo, s3
	s_cbranch_execz .LBB64_40
.LBB64_24:                              ; =>This Loop Header: Depth=1
                                        ;     Child Loop BB64_27 Depth 2
	v_ashrrev_i32_e32 v9, 31, v8
	s_delay_alu instid0(VALU_DEP_1) | instskip(SKIP_1) | instid1(VALU_DEP_2)
	v_lshlrev_b64 v[0:1], 2, v[8:9]
	v_lshlrev_b64 v[9:10], 4, v[8:9]
	v_add_co_u32 v0, vcc_lo, s8, v0
	s_delay_alu instid0(VALU_DEP_3) | instskip(SKIP_3) | instid1(VALU_DEP_1)
	v_add_co_ci_u32_e32 v1, vcc_lo, s9, v1, vcc_lo
	global_load_b32 v0, v[0:1], off
	s_waitcnt vmcnt(0)
	v_subrev_nc_u32_e32 v11, s2, v0
	v_ashrrev_i32_e32 v12, 31, v11
	s_delay_alu instid0(VALU_DEP_1) | instskip(SKIP_2) | instid1(VALU_DEP_3)
	v_lshlrev_b64 v[0:1], 2, v[11:12]
	v_mov_b32_e32 v12, 0
	v_mov_b32_e32 v13, 0
	v_add_co_u32 v2, vcc_lo, s22, v0
	s_delay_alu instid0(VALU_DEP_4)
	v_add_co_ci_u32_e32 v3, vcc_lo, s23, v1, vcc_lo
	v_add_co_u32 v4, vcc_lo, s12, v0
	v_add_co_ci_u32_e32 v5, vcc_lo, s13, v1, vcc_lo
	global_load_b32 v2, v[2:3], off
	v_add_co_u32 v0, vcc_lo, s26, v0
	v_add_co_ci_u32_e32 v1, vcc_lo, s27, v1, vcc_lo
	v_add_co_u32 v6, vcc_lo, s10, v9
	v_add_co_ci_u32_e32 v7, vcc_lo, s11, v10, vcc_lo
	global_load_b32 v16, v[4:5], off
	global_load_b32 v17, v[0:1], off
	v_dual_mov_b32 v15, v13 :: v_dual_mov_b32 v14, v12
	s_waitcnt vmcnt(2)
	v_subrev_nc_u32_e32 v2, s2, v2
	s_delay_alu instid0(VALU_DEP_1) | instskip(NEXT) | instid1(VALU_DEP_1)
	v_ashrrev_i32_e32 v3, 31, v2
	v_lshlrev_b64 v[2:3], 4, v[2:3]
	s_delay_alu instid0(VALU_DEP_1) | instskip(NEXT) | instid1(VALU_DEP_2)
	v_add_co_u32 v4, vcc_lo, s18, v2
	v_add_co_ci_u32_e32 v5, vcc_lo, s19, v3, vcc_lo
	s_waitcnt vmcnt(0)
	v_cmp_lt_i32_e32 vcc_lo, v17, v16
	global_load_b128 v[0:3], v[6:7], off
	global_load_b128 v[4:7], v[4:5], off
	s_and_b32 s1, s0, vcc_lo
	s_delay_alu instid0(SALU_CYCLE_1)
	s_and_saveexec_b32 s4, s1
	s_cbranch_execz .LBB64_30
; %bb.25:                               ;   in Loop: Header=BB64_24 Depth=1
	v_mov_b32_e32 v12, 0
	v_dual_mov_b32 v13, 0 :: v_dual_mov_b32 v18, v25
	v_subrev_nc_u32_e32 v26, s2, v16
	v_subrev_nc_u32_e32 v16, s2, v17
	s_mov_b32 s5, 0
	s_delay_alu instid0(VALU_DEP_3)
	v_dual_mov_b32 v15, v13 :: v_dual_mov_b32 v14, v12
	s_branch .LBB64_27
.LBB64_26:                              ;   in Loop: Header=BB64_27 Depth=2
	s_or_b32 exec_lo, exec_lo, s1
	v_cmp_le_i32_e32 vcc_lo, v17, v27
	v_add_co_ci_u32_e32 v18, vcc_lo, 0, v18, vcc_lo
	v_cmp_ge_i32_e32 vcc_lo, v17, v27
	v_add_co_ci_u32_e32 v16, vcc_lo, 0, v16, vcc_lo
	s_delay_alu instid0(VALU_DEP_3) | instskip(NEXT) | instid1(VALU_DEP_2)
	v_cmp_ge_i32_e32 vcc_lo, v18, v24
	v_cmp_ge_i32_e64 s1, v16, v26
	s_delay_alu instid0(VALU_DEP_1) | instskip(NEXT) | instid1(SALU_CYCLE_1)
	s_or_b32 s1, vcc_lo, s1
	s_and_b32 s1, exec_lo, s1
	s_delay_alu instid0(SALU_CYCLE_1) | instskip(NEXT) | instid1(SALU_CYCLE_1)
	s_or_b32 s5, s1, s5
	s_and_not1_b32 exec_lo, exec_lo, s5
	s_cbranch_execz .LBB64_29
.LBB64_27:                              ;   Parent Loop BB64_24 Depth=1
                                        ; =>  This Inner Loop Header: Depth=2
	v_ashrrev_i32_e32 v19, 31, v18
	v_ashrrev_i32_e32 v17, 31, v16
	s_mov_b32 s1, exec_lo
	s_delay_alu instid0(VALU_DEP_2) | instskip(NEXT) | instid1(VALU_DEP_2)
	v_lshlrev_b64 v[27:28], 2, v[18:19]
	v_lshlrev_b64 v[20:21], 2, v[16:17]
	s_delay_alu instid0(VALU_DEP_2) | instskip(NEXT) | instid1(VALU_DEP_3)
	v_add_co_u32 v27, vcc_lo, s24, v27
	v_add_co_ci_u32_e32 v28, vcc_lo, s25, v28, vcc_lo
	s_delay_alu instid0(VALU_DEP_3) | instskip(NEXT) | instid1(VALU_DEP_4)
	v_add_co_u32 v29, vcc_lo, s14, v20
	v_add_co_ci_u32_e32 v30, vcc_lo, s15, v21, vcc_lo
	global_load_b32 v17, v[27:28], off
	global_load_b32 v27, v[29:30], off
	s_waitcnt vmcnt(0)
	v_cmpx_eq_u32_e64 v17, v27
	s_cbranch_execz .LBB64_26
; %bb.28:                               ;   in Loop: Header=BB64_27 Depth=2
	v_add_co_u32 v20, vcc_lo, s16, v20
	v_add_co_ci_u32_e32 v21, vcc_lo, s17, v21, vcc_lo
	v_lshlrev_b64 v[28:29], 4, v[18:19]
	global_load_b32 v20, v[20:21], off
	v_add_co_u32 v28, vcc_lo, s18, v28
	v_add_co_ci_u32_e32 v29, vcc_lo, s19, v29, vcc_lo
	s_waitcnt vmcnt(0)
	v_ashrrev_i32_e32 v21, 31, v20
	s_delay_alu instid0(VALU_DEP_1) | instskip(NEXT) | instid1(VALU_DEP_1)
	v_lshlrev_b64 v[19:20], 4, v[20:21]
	v_add_co_u32 v19, vcc_lo, s18, v19
	s_delay_alu instid0(VALU_DEP_2)
	v_add_co_ci_u32_e32 v20, vcc_lo, s19, v20, vcc_lo
	s_clause 0x1
	global_load_b128 v[28:31], v[28:29], off
	global_load_b128 v[32:35], v[19:20], off
	s_waitcnt vmcnt(0)
	v_fma_f64 v[12:13], v[28:29], v[32:33], v[12:13]
	v_fma_f64 v[14:15], v[30:31], v[32:33], v[14:15]
	s_delay_alu instid0(VALU_DEP_2) | instskip(NEXT) | instid1(VALU_DEP_2)
	v_fma_f64 v[12:13], -v[30:31], v[34:35], v[12:13]
	v_fma_f64 v[14:15], v[28:29], v[34:35], v[14:15]
	s_branch .LBB64_26
.LBB64_29:                              ;   in Loop: Header=BB64_24 Depth=1
	s_or_b32 exec_lo, exec_lo, s5
.LBB64_30:                              ;   in Loop: Header=BB64_24 Depth=1
	s_delay_alu instid0(SALU_CYCLE_1)
	s_or_b32 exec_lo, exec_lo, s4
	s_waitcnt vmcnt(1)
	v_add_f64 v[0:1], v[0:1], -v[12:13]
	v_add_f64 v[2:3], v[2:3], -v[14:15]
	s_mov_b32 s1, exec_lo
	v_cmpx_gt_i32_e64 v22, v11
	s_cbranch_execz .LBB64_32
; %bb.31:                               ;   in Loop: Header=BB64_24 Depth=1
	s_waitcnt vmcnt(0)
	v_mul_f64 v[11:12], v[6:7], v[6:7]
	s_delay_alu instid0(VALU_DEP_1) | instskip(NEXT) | instid1(VALU_DEP_1)
	v_fma_f64 v[11:12], v[4:5], v[4:5], v[11:12]
	v_div_scale_f64 v[13:14], null, v[11:12], v[11:12], 1.0
	v_div_scale_f64 v[19:20], vcc_lo, 1.0, v[11:12], 1.0
	s_delay_alu instid0(VALU_DEP_2) | instskip(SKIP_2) | instid1(VALU_DEP_1)
	v_rcp_f64_e32 v[15:16], v[13:14]
	s_waitcnt_depctr 0xfff
	v_fma_f64 v[17:18], -v[13:14], v[15:16], 1.0
	v_fma_f64 v[15:16], v[15:16], v[17:18], v[15:16]
	s_delay_alu instid0(VALU_DEP_1) | instskip(NEXT) | instid1(VALU_DEP_1)
	v_fma_f64 v[17:18], -v[13:14], v[15:16], 1.0
	v_fma_f64 v[15:16], v[15:16], v[17:18], v[15:16]
	s_delay_alu instid0(VALU_DEP_1) | instskip(NEXT) | instid1(VALU_DEP_1)
	v_mul_f64 v[17:18], v[19:20], v[15:16]
	v_fma_f64 v[13:14], -v[13:14], v[17:18], v[19:20]
	s_delay_alu instid0(VALU_DEP_1) | instskip(SKIP_2) | instid1(VALU_DEP_3)
	v_div_fmas_f64 v[13:14], v[13:14], v[15:16], v[17:18]
	v_mul_f64 v[15:16], v[6:7], v[2:3]
	v_mul_f64 v[6:7], v[6:7], -v[0:1]
	v_div_fixup_f64 v[11:12], v[13:14], v[11:12], 1.0
	s_delay_alu instid0(VALU_DEP_3) | instskip(NEXT) | instid1(VALU_DEP_3)
	v_fma_f64 v[0:1], v[0:1], v[4:5], v[15:16]
	v_fma_f64 v[2:3], v[2:3], v[4:5], v[6:7]
	s_delay_alu instid0(VALU_DEP_2) | instskip(NEXT) | instid1(VALU_DEP_2)
	v_mul_f64 v[0:1], v[11:12], v[0:1]
	v_mul_f64 v[2:3], v[11:12], v[2:3]
.LBB64_32:                              ;   in Loop: Header=BB64_24 Depth=1
	s_or_b32 exec_lo, exec_lo, s1
	s_delay_alu instid0(VALU_DEP_2) | instskip(NEXT) | instid1(VALU_DEP_2)
	v_cmp_gt_f64_e32 vcc_lo, 0, v[0:1]
	v_cmp_gt_f64_e64 s1, 0, v[2:3]
	s_waitcnt vmcnt(0)
	v_xor_b32_e32 v4, 0x80000000, v1
	v_xor_b32_e32 v6, 0x80000000, v3
                                        ; implicit-def: $vgpr11_vgpr12
	s_delay_alu instid0(VALU_DEP_2) | instskip(NEXT) | instid1(VALU_DEP_2)
	v_cndmask_b32_e32 v5, v1, v4, vcc_lo
	v_cndmask_b32_e64 v7, v3, v6, s1
	v_cndmask_b32_e32 v4, v0, v0, vcc_lo
	v_cndmask_b32_e64 v6, v2, v2, s1
	s_mov_b32 s1, exec_lo
	s_delay_alu instid0(VALU_DEP_1)
	v_cmpx_ngt_f64_e32 v[4:5], v[6:7]
	s_xor_b32 s1, exec_lo, s1
	s_cbranch_execnz .LBB64_35
; %bb.33:                               ;   in Loop: Header=BB64_24 Depth=1
	s_and_not1_saveexec_b32 s1, s1
	s_cbranch_execnz .LBB64_38
.LBB64_34:                              ;   in Loop: Header=BB64_24 Depth=1
	s_or_b32 exec_lo, exec_lo, s1
	s_delay_alu instid0(VALU_DEP_1) | instskip(NEXT) | instid1(VALU_DEP_1)
	v_cmp_class_f64_e64 s4, v[11:12], 0x1f8
	s_and_saveexec_b32 s1, s4
	s_cbranch_execz .LBB64_23
	s_branch .LBB64_39
.LBB64_35:                              ;   in Loop: Header=BB64_24 Depth=1
	v_mov_b32_e32 v11, 0
	v_mov_b32_e32 v12, 0
	s_mov_b32 s4, exec_lo
	v_cmpx_neq_f64_e32 0, v[2:3]
	s_cbranch_execz .LBB64_37
; %bb.36:                               ;   in Loop: Header=BB64_24 Depth=1
	v_div_scale_f64 v[11:12], null, v[6:7], v[6:7], v[4:5]
	v_div_scale_f64 v[17:18], vcc_lo, v[4:5], v[6:7], v[4:5]
	s_delay_alu instid0(VALU_DEP_2) | instskip(SKIP_2) | instid1(VALU_DEP_1)
	v_rcp_f64_e32 v[13:14], v[11:12]
	s_waitcnt_depctr 0xfff
	v_fma_f64 v[15:16], -v[11:12], v[13:14], 1.0
	v_fma_f64 v[13:14], v[13:14], v[15:16], v[13:14]
	s_delay_alu instid0(VALU_DEP_1) | instskip(NEXT) | instid1(VALU_DEP_1)
	v_fma_f64 v[15:16], -v[11:12], v[13:14], 1.0
	v_fma_f64 v[13:14], v[13:14], v[15:16], v[13:14]
	s_delay_alu instid0(VALU_DEP_1) | instskip(NEXT) | instid1(VALU_DEP_1)
	v_mul_f64 v[15:16], v[17:18], v[13:14]
	v_fma_f64 v[11:12], -v[11:12], v[15:16], v[17:18]
	s_delay_alu instid0(VALU_DEP_1) | instskip(NEXT) | instid1(VALU_DEP_1)
	v_div_fmas_f64 v[11:12], v[11:12], v[13:14], v[15:16]
	v_div_fixup_f64 v[4:5], v[11:12], v[6:7], v[4:5]
	s_delay_alu instid0(VALU_DEP_1) | instskip(NEXT) | instid1(VALU_DEP_1)
	v_fma_f64 v[4:5], v[4:5], v[4:5], 1.0
	v_cmp_gt_f64_e32 vcc_lo, 0x10000000, v[4:5]
	v_cndmask_b32_e64 v11, 0, 1, vcc_lo
	s_delay_alu instid0(VALU_DEP_1) | instskip(NEXT) | instid1(VALU_DEP_1)
	v_lshlrev_b32_e32 v11, 8, v11
	v_ldexp_f64 v[4:5], v[4:5], v11
	s_delay_alu instid0(VALU_DEP_1) | instskip(SKIP_3) | instid1(VALU_DEP_1)
	v_rsq_f64_e32 v[11:12], v[4:5]
	s_waitcnt_depctr 0xfff
	v_mul_f64 v[13:14], v[4:5], v[11:12]
	v_mul_f64 v[11:12], v[11:12], 0.5
	v_fma_f64 v[15:16], -v[11:12], v[13:14], 0.5
	s_delay_alu instid0(VALU_DEP_1) | instskip(SKIP_1) | instid1(VALU_DEP_2)
	v_fma_f64 v[13:14], v[13:14], v[15:16], v[13:14]
	v_fma_f64 v[11:12], v[11:12], v[15:16], v[11:12]
	v_fma_f64 v[15:16], -v[13:14], v[13:14], v[4:5]
	s_delay_alu instid0(VALU_DEP_1) | instskip(NEXT) | instid1(VALU_DEP_1)
	v_fma_f64 v[13:14], v[15:16], v[11:12], v[13:14]
	v_fma_f64 v[15:16], -v[13:14], v[13:14], v[4:5]
	s_delay_alu instid0(VALU_DEP_1) | instskip(SKIP_2) | instid1(VALU_DEP_2)
	v_fma_f64 v[11:12], v[15:16], v[11:12], v[13:14]
	v_cndmask_b32_e64 v13, 0, 0xffffff80, vcc_lo
	v_cmp_class_f64_e64 vcc_lo, v[4:5], 0x260
	v_ldexp_f64 v[11:12], v[11:12], v13
	s_delay_alu instid0(VALU_DEP_1) | instskip(NEXT) | instid1(VALU_DEP_1)
	v_dual_cndmask_b32 v5, v12, v5 :: v_dual_cndmask_b32 v4, v11, v4
	v_mul_f64 v[11:12], v[6:7], v[4:5]
.LBB64_37:                              ;   in Loop: Header=BB64_24 Depth=1
	s_or_b32 exec_lo, exec_lo, s4
                                        ; implicit-def: $vgpr4_vgpr5
                                        ; implicit-def: $vgpr6_vgpr7
	s_and_not1_saveexec_b32 s1, s1
	s_cbranch_execz .LBB64_34
.LBB64_38:                              ;   in Loop: Header=BB64_24 Depth=1
	v_div_scale_f64 v[11:12], null, v[4:5], v[4:5], v[6:7]
	v_div_scale_f64 v[17:18], vcc_lo, v[6:7], v[4:5], v[6:7]
	s_delay_alu instid0(VALU_DEP_2) | instskip(SKIP_2) | instid1(VALU_DEP_1)
	v_rcp_f64_e32 v[13:14], v[11:12]
	s_waitcnt_depctr 0xfff
	v_fma_f64 v[15:16], -v[11:12], v[13:14], 1.0
	v_fma_f64 v[13:14], v[13:14], v[15:16], v[13:14]
	s_delay_alu instid0(VALU_DEP_1) | instskip(NEXT) | instid1(VALU_DEP_1)
	v_fma_f64 v[15:16], -v[11:12], v[13:14], 1.0
	v_fma_f64 v[13:14], v[13:14], v[15:16], v[13:14]
	s_delay_alu instid0(VALU_DEP_1) | instskip(NEXT) | instid1(VALU_DEP_1)
	v_mul_f64 v[15:16], v[17:18], v[13:14]
	v_fma_f64 v[11:12], -v[11:12], v[15:16], v[17:18]
	s_delay_alu instid0(VALU_DEP_1) | instskip(NEXT) | instid1(VALU_DEP_1)
	v_div_fmas_f64 v[11:12], v[11:12], v[13:14], v[15:16]
	v_div_fixup_f64 v[6:7], v[11:12], v[4:5], v[6:7]
	s_delay_alu instid0(VALU_DEP_1) | instskip(NEXT) | instid1(VALU_DEP_1)
	v_fma_f64 v[6:7], v[6:7], v[6:7], 1.0
	v_cmp_gt_f64_e32 vcc_lo, 0x10000000, v[6:7]
	v_cndmask_b32_e64 v11, 0, 1, vcc_lo
	s_delay_alu instid0(VALU_DEP_1) | instskip(NEXT) | instid1(VALU_DEP_1)
	v_lshlrev_b32_e32 v11, 8, v11
	v_ldexp_f64 v[6:7], v[6:7], v11
	s_delay_alu instid0(VALU_DEP_1) | instskip(SKIP_3) | instid1(VALU_DEP_1)
	v_rsq_f64_e32 v[11:12], v[6:7]
	s_waitcnt_depctr 0xfff
	v_mul_f64 v[13:14], v[6:7], v[11:12]
	v_mul_f64 v[11:12], v[11:12], 0.5
	v_fma_f64 v[15:16], -v[11:12], v[13:14], 0.5
	s_delay_alu instid0(VALU_DEP_1) | instskip(SKIP_1) | instid1(VALU_DEP_2)
	v_fma_f64 v[13:14], v[13:14], v[15:16], v[13:14]
	v_fma_f64 v[11:12], v[11:12], v[15:16], v[11:12]
	v_fma_f64 v[15:16], -v[13:14], v[13:14], v[6:7]
	s_delay_alu instid0(VALU_DEP_1) | instskip(NEXT) | instid1(VALU_DEP_1)
	v_fma_f64 v[13:14], v[15:16], v[11:12], v[13:14]
	v_fma_f64 v[15:16], -v[13:14], v[13:14], v[6:7]
	s_delay_alu instid0(VALU_DEP_1) | instskip(SKIP_2) | instid1(VALU_DEP_2)
	v_fma_f64 v[11:12], v[15:16], v[11:12], v[13:14]
	v_cndmask_b32_e64 v13, 0, 0xffffff80, vcc_lo
	v_cmp_class_f64_e64 vcc_lo, v[6:7], 0x260
	v_ldexp_f64 v[11:12], v[11:12], v13
	s_delay_alu instid0(VALU_DEP_1) | instskip(NEXT) | instid1(VALU_DEP_1)
	v_dual_cndmask_b32 v7, v12, v7 :: v_dual_cndmask_b32 v6, v11, v6
	v_mul_f64 v[11:12], v[4:5], v[6:7]
	s_or_b32 exec_lo, exec_lo, s1
	s_delay_alu instid0(VALU_DEP_1) | instskip(NEXT) | instid1(VALU_DEP_1)
	v_cmp_class_f64_e64 s4, v[11:12], 0x1f8
	s_and_saveexec_b32 s1, s4
	s_cbranch_execz .LBB64_23
.LBB64_39:                              ;   in Loop: Header=BB64_24 Depth=1
	v_add_co_u32 v4, vcc_lo, s18, v9
	v_add_co_ci_u32_e32 v5, vcc_lo, s19, v10, vcc_lo
	global_store_b128 v[4:5], v[0:3], off
	s_branch .LBB64_23
.LBB64_40:
	s_nop 0
	s_sendmsg sendmsg(MSG_DEALLOC_VGPRS)
	s_endpgm
	.section	.rodata,"a",@progbits
	.p2align	6, 0x0
	.amdhsa_kernel _ZN9rocsparseL16kernel_calculateILi1024ELi2ELb0E21rocsparse_complex_numIdEiiEEvT4_T3_PKS4_S6_PKS3_PKT2_21rocsparse_index_base_S6_S6_S8_S6_S6_S8_S6_PS9_PNS_15floating_traitsIS9_E6data_tEPKSG_
		.amdhsa_group_segment_fixed_size 0
		.amdhsa_private_segment_fixed_size 0
		.amdhsa_kernarg_size 128
		.amdhsa_user_sgpr_count 15
		.amdhsa_user_sgpr_dispatch_ptr 0
		.amdhsa_user_sgpr_queue_ptr 0
		.amdhsa_user_sgpr_kernarg_segment_ptr 1
		.amdhsa_user_sgpr_dispatch_id 0
		.amdhsa_user_sgpr_private_segment_size 0
		.amdhsa_wavefront_size32 1
		.amdhsa_uses_dynamic_stack 0
		.amdhsa_enable_private_segment 0
		.amdhsa_system_sgpr_workgroup_id_x 1
		.amdhsa_system_sgpr_workgroup_id_y 0
		.amdhsa_system_sgpr_workgroup_id_z 0
		.amdhsa_system_sgpr_workgroup_info 0
		.amdhsa_system_vgpr_workitem_id 0
		.amdhsa_next_free_vgpr 43
		.amdhsa_next_free_sgpr 28
		.amdhsa_reserve_vcc 1
		.amdhsa_float_round_mode_32 0
		.amdhsa_float_round_mode_16_64 0
		.amdhsa_float_denorm_mode_32 3
		.amdhsa_float_denorm_mode_16_64 3
		.amdhsa_dx10_clamp 1
		.amdhsa_ieee_mode 1
		.amdhsa_fp16_overflow 0
		.amdhsa_workgroup_processor_mode 1
		.amdhsa_memory_ordered 1
		.amdhsa_forward_progress 0
		.amdhsa_shared_vgpr_count 0
		.amdhsa_exception_fp_ieee_invalid_op 0
		.amdhsa_exception_fp_denorm_src 0
		.amdhsa_exception_fp_ieee_div_zero 0
		.amdhsa_exception_fp_ieee_overflow 0
		.amdhsa_exception_fp_ieee_underflow 0
		.amdhsa_exception_fp_ieee_inexact 0
		.amdhsa_exception_int_div_zero 0
	.end_amdhsa_kernel
	.section	.text._ZN9rocsparseL16kernel_calculateILi1024ELi2ELb0E21rocsparse_complex_numIdEiiEEvT4_T3_PKS4_S6_PKS3_PKT2_21rocsparse_index_base_S6_S6_S8_S6_S6_S8_S6_PS9_PNS_15floating_traitsIS9_E6data_tEPKSG_,"axG",@progbits,_ZN9rocsparseL16kernel_calculateILi1024ELi2ELb0E21rocsparse_complex_numIdEiiEEvT4_T3_PKS4_S6_PKS3_PKT2_21rocsparse_index_base_S6_S6_S8_S6_S6_S8_S6_PS9_PNS_15floating_traitsIS9_E6data_tEPKSG_,comdat
.Lfunc_end64:
	.size	_ZN9rocsparseL16kernel_calculateILi1024ELi2ELb0E21rocsparse_complex_numIdEiiEEvT4_T3_PKS4_S6_PKS3_PKT2_21rocsparse_index_base_S6_S6_S8_S6_S6_S8_S6_PS9_PNS_15floating_traitsIS9_E6data_tEPKSG_, .Lfunc_end64-_ZN9rocsparseL16kernel_calculateILi1024ELi2ELb0E21rocsparse_complex_numIdEiiEEvT4_T3_PKS4_S6_PKS3_PKT2_21rocsparse_index_base_S6_S6_S8_S6_S6_S8_S6_PS9_PNS_15floating_traitsIS9_E6data_tEPKSG_
                                        ; -- End function
	.section	.AMDGPU.csdata,"",@progbits
; Kernel info:
; codeLenInByte = 3720
; NumSgprs: 30
; NumVgprs: 43
; ScratchSize: 0
; MemoryBound: 1
; FloatMode: 240
; IeeeMode: 1
; LDSByteSize: 0 bytes/workgroup (compile time only)
; SGPRBlocks: 3
; VGPRBlocks: 5
; NumSGPRsForWavesPerEU: 30
; NumVGPRsForWavesPerEU: 43
; Occupancy: 16
; WaveLimiterHint : 1
; COMPUTE_PGM_RSRC2:SCRATCH_EN: 0
; COMPUTE_PGM_RSRC2:USER_SGPR: 15
; COMPUTE_PGM_RSRC2:TRAP_HANDLER: 0
; COMPUTE_PGM_RSRC2:TGID_X_EN: 1
; COMPUTE_PGM_RSRC2:TGID_Y_EN: 0
; COMPUTE_PGM_RSRC2:TGID_Z_EN: 0
; COMPUTE_PGM_RSRC2:TIDIG_COMP_CNT: 0
	.section	.text._ZN9rocsparseL16kernel_calculateILi1024ELi4ELb0E21rocsparse_complex_numIdEiiEEvT4_T3_PKS4_S6_PKS3_PKT2_21rocsparse_index_base_S6_S6_S8_S6_S6_S8_S6_PS9_PNS_15floating_traitsIS9_E6data_tEPKSG_,"axG",@progbits,_ZN9rocsparseL16kernel_calculateILi1024ELi4ELb0E21rocsparse_complex_numIdEiiEEvT4_T3_PKS4_S6_PKS3_PKT2_21rocsparse_index_base_S6_S6_S8_S6_S6_S8_S6_PS9_PNS_15floating_traitsIS9_E6data_tEPKSG_,comdat
	.globl	_ZN9rocsparseL16kernel_calculateILi1024ELi4ELb0E21rocsparse_complex_numIdEiiEEvT4_T3_PKS4_S6_PKS3_PKT2_21rocsparse_index_base_S6_S6_S8_S6_S6_S8_S6_PS9_PNS_15floating_traitsIS9_E6data_tEPKSG_ ; -- Begin function _ZN9rocsparseL16kernel_calculateILi1024ELi4ELb0E21rocsparse_complex_numIdEiiEEvT4_T3_PKS4_S6_PKS3_PKT2_21rocsparse_index_base_S6_S6_S8_S6_S6_S8_S6_PS9_PNS_15floating_traitsIS9_E6data_tEPKSG_
	.p2align	8
	.type	_ZN9rocsparseL16kernel_calculateILi1024ELi4ELb0E21rocsparse_complex_numIdEiiEEvT4_T3_PKS4_S6_PKS3_PKT2_21rocsparse_index_base_S6_S6_S8_S6_S6_S8_S6_PS9_PNS_15floating_traitsIS9_E6data_tEPKSG_,@function
_ZN9rocsparseL16kernel_calculateILi1024ELi4ELb0E21rocsparse_complex_numIdEiiEEvT4_T3_PKS4_S6_PKS3_PKT2_21rocsparse_index_base_S6_S6_S8_S6_S6_S8_S6_PS9_PNS_15floating_traitsIS9_E6data_tEPKSG_: ; @_ZN9rocsparseL16kernel_calculateILi1024ELi4ELb0E21rocsparse_complex_numIdEiiEEvT4_T3_PKS4_S6_PKS3_PKT2_21rocsparse_index_base_S6_S6_S8_S6_S6_S8_S6_PS9_PNS_15floating_traitsIS9_E6data_tEPKSG_
; %bb.0:
	s_load_b32 s2, s[0:1], 0x0
	v_lshrrev_b32_e32 v1, 2, v0
	s_mov_b32 s3, exec_lo
	s_delay_alu instid0(VALU_DEP_1) | instskip(SKIP_1) | instid1(VALU_DEP_1)
	v_lshl_or_b32 v23, s15, 10, v1
	s_waitcnt lgkmcnt(0)
	v_cmpx_gt_i32_e64 s2, v23
	s_cbranch_execz .LBB65_23
; %bb.1:
	s_clause 0x3
	s_load_b32 s3, s[0:1], 0x28
	s_load_b256 s[4:11], s[0:1], 0x50
	s_load_b256 s[12:19], s[0:1], 0x30
	;; [unrolled: 1-line block ×3, first 2 shown]
	v_and_b32_e32 v0, 3, v0
	s_mov_b32 s28, 0
	s_waitcnt lgkmcnt(0)
	s_delay_alu instid0(VALU_DEP_1)
	v_subrev_nc_u32_e32 v24, s3, v0
	s_branch .LBB65_3
.LBB65_2:                               ;   in Loop: Header=BB65_3 Depth=1
	s_or_b32 exec_lo, exec_lo, s29
	s_add_i32 s28, s28, 1
	s_delay_alu instid0(SALU_CYCLE_1)
	s_cmp_lg_u32 s28, 4
	s_cbranch_scc0 .LBB65_23
.LBB65_3:                               ; =>This Loop Header: Depth=1
                                        ;     Child Loop BB65_7 Depth 2
                                        ;       Child Loop BB65_10 Depth 3
	v_lshl_add_u32 v8, s28, 8, v23
	s_mov_b32 s29, exec_lo
	s_delay_alu instid0(VALU_DEP_1)
	v_cmpx_gt_i32_e64 s2, v8
	s_cbranch_execz .LBB65_2
; %bb.4:                                ;   in Loop: Header=BB65_3 Depth=1
	v_ashrrev_i32_e32 v9, 31, v8
	s_delay_alu instid0(VALU_DEP_1) | instskip(NEXT) | instid1(VALU_DEP_1)
	v_lshlrev_b64 v[0:1], 2, v[8:9]
	v_add_co_u32 v2, vcc_lo, s22, v0
	s_delay_alu instid0(VALU_DEP_2)
	v_add_co_ci_u32_e32 v3, vcc_lo, s23, v1, vcc_lo
	v_add_co_u32 v4, vcc_lo, s20, v0
	v_add_co_ci_u32_e32 v5, vcc_lo, s21, v1, vcc_lo
	global_load_b32 v2, v[2:3], off
	global_load_b32 v3, v[4:5], off
	s_waitcnt vmcnt(1)
	v_subrev_nc_u32_e32 v25, s3, v2
	s_waitcnt vmcnt(0)
	v_add_nc_u32_e32 v9, v24, v3
	s_delay_alu instid0(VALU_DEP_1)
	v_cmp_lt_i32_e32 vcc_lo, v9, v25
	s_and_b32 exec_lo, exec_lo, vcc_lo
	s_cbranch_execz .LBB65_2
; %bb.5:                                ;   in Loop: Header=BB65_3 Depth=1
	v_add_co_u32 v2, vcc_lo, s14, v0
	v_add_co_ci_u32_e32 v3, vcc_lo, s15, v1, vcc_lo
	v_add_co_u32 v0, vcc_lo, s12, v0
	v_add_co_ci_u32_e32 v1, vcc_lo, s13, v1, vcc_lo
	s_mov_b32 s30, 0
	global_load_b32 v2, v[2:3], off
	global_load_b32 v0, v[0:1], off
	s_waitcnt vmcnt(1)
	v_subrev_nc_u32_e32 v26, s3, v2
	s_waitcnt vmcnt(0)
	v_cmp_lt_i32_e64 s0, v0, v2
	v_subrev_nc_u32_e32 v27, s3, v0
	s_branch .LBB65_7
.LBB65_6:                               ;   in Loop: Header=BB65_7 Depth=2
	s_or_b32 exec_lo, exec_lo, s1
	v_add_nc_u32_e32 v9, 4, v9
	s_delay_alu instid0(VALU_DEP_1) | instskip(SKIP_1) | instid1(SALU_CYCLE_1)
	v_cmp_ge_i32_e32 vcc_lo, v9, v25
	s_or_b32 s30, vcc_lo, s30
	s_and_not1_b32 exec_lo, exec_lo, s30
	s_cbranch_execz .LBB65_2
.LBB65_7:                               ;   Parent Loop BB65_3 Depth=1
                                        ; =>  This Loop Header: Depth=2
                                        ;       Child Loop BB65_10 Depth 3
	v_ashrrev_i32_e32 v10, 31, v9
	s_delay_alu instid0(VALU_DEP_1) | instskip(SKIP_1) | instid1(VALU_DEP_2)
	v_lshlrev_b64 v[0:1], 2, v[9:10]
	v_lshlrev_b64 v[10:11], 4, v[9:10]
	v_add_co_u32 v0, vcc_lo, s24, v0
	s_delay_alu instid0(VALU_DEP_3) | instskip(SKIP_3) | instid1(VALU_DEP_1)
	v_add_co_ci_u32_e32 v1, vcc_lo, s25, v1, vcc_lo
	global_load_b32 v0, v[0:1], off
	s_waitcnt vmcnt(0)
	v_subrev_nc_u32_e32 v12, s3, v0
	v_ashrrev_i32_e32 v13, 31, v12
	s_delay_alu instid0(VALU_DEP_1) | instskip(SKIP_2) | instid1(VALU_DEP_3)
	v_lshlrev_b64 v[0:1], 2, v[12:13]
	v_mov_b32_e32 v13, 0
	v_mov_b32_e32 v14, 0
	v_add_co_u32 v2, vcc_lo, s14, v0
	s_delay_alu instid0(VALU_DEP_4)
	v_add_co_ci_u32_e32 v3, vcc_lo, s15, v1, vcc_lo
	v_add_co_u32 v4, vcc_lo, s4, v0
	v_add_co_ci_u32_e32 v5, vcc_lo, s5, v1, vcc_lo
	global_load_b32 v2, v[2:3], off
	v_add_co_u32 v0, vcc_lo, s18, v0
	v_add_co_ci_u32_e32 v1, vcc_lo, s19, v1, vcc_lo
	v_add_co_u32 v6, vcc_lo, s26, v10
	v_add_co_ci_u32_e32 v7, vcc_lo, s27, v11, vcc_lo
	global_load_b32 v17, v[4:5], off
	global_load_b32 v18, v[0:1], off
	v_dual_mov_b32 v16, v14 :: v_dual_mov_b32 v15, v13
	s_waitcnt vmcnt(2)
	v_subrev_nc_u32_e32 v2, s3, v2
	s_delay_alu instid0(VALU_DEP_1) | instskip(NEXT) | instid1(VALU_DEP_1)
	v_ashrrev_i32_e32 v3, 31, v2
	v_lshlrev_b64 v[2:3], 4, v[2:3]
	s_delay_alu instid0(VALU_DEP_1) | instskip(NEXT) | instid1(VALU_DEP_2)
	v_add_co_u32 v4, vcc_lo, s10, v2
	v_add_co_ci_u32_e32 v5, vcc_lo, s11, v3, vcc_lo
	s_waitcnt vmcnt(0)
	v_cmp_lt_i32_e32 vcc_lo, v18, v17
	global_load_b128 v[0:3], v[6:7], off
	global_load_b128 v[4:7], v[4:5], off
	s_and_b32 s1, s0, vcc_lo
	s_delay_alu instid0(SALU_CYCLE_1)
	s_and_saveexec_b32 s31, s1
	s_cbranch_execz .LBB65_13
; %bb.8:                                ;   in Loop: Header=BB65_7 Depth=2
	v_mov_b32_e32 v13, 0
	v_dual_mov_b32 v14, 0 :: v_dual_mov_b32 v19, v27
	v_subrev_nc_u32_e32 v28, s3, v17
	v_subrev_nc_u32_e32 v17, s3, v18
	s_mov_b32 s33, 0
	s_delay_alu instid0(VALU_DEP_3)
	v_dual_mov_b32 v16, v14 :: v_dual_mov_b32 v15, v13
	s_branch .LBB65_10
.LBB65_9:                               ;   in Loop: Header=BB65_10 Depth=3
	s_or_b32 exec_lo, exec_lo, s1
	v_cmp_le_i32_e32 vcc_lo, v18, v29
	v_add_co_ci_u32_e32 v19, vcc_lo, 0, v19, vcc_lo
	v_cmp_ge_i32_e32 vcc_lo, v18, v29
	v_add_co_ci_u32_e32 v17, vcc_lo, 0, v17, vcc_lo
	s_delay_alu instid0(VALU_DEP_3) | instskip(NEXT) | instid1(VALU_DEP_2)
	v_cmp_ge_i32_e32 vcc_lo, v19, v26
	v_cmp_ge_i32_e64 s1, v17, v28
	s_delay_alu instid0(VALU_DEP_1) | instskip(NEXT) | instid1(SALU_CYCLE_1)
	s_or_b32 s1, vcc_lo, s1
	s_and_b32 s1, exec_lo, s1
	s_delay_alu instid0(SALU_CYCLE_1) | instskip(NEXT) | instid1(SALU_CYCLE_1)
	s_or_b32 s33, s1, s33
	s_and_not1_b32 exec_lo, exec_lo, s33
	s_cbranch_execz .LBB65_12
.LBB65_10:                              ;   Parent Loop BB65_3 Depth=1
                                        ;     Parent Loop BB65_7 Depth=2
                                        ; =>    This Inner Loop Header: Depth=3
	v_ashrrev_i32_e32 v20, 31, v19
	v_ashrrev_i32_e32 v18, 31, v17
	s_mov_b32 s1, exec_lo
	s_delay_alu instid0(VALU_DEP_2) | instskip(NEXT) | instid1(VALU_DEP_2)
	v_lshlrev_b64 v[29:30], 2, v[19:20]
	v_lshlrev_b64 v[21:22], 2, v[17:18]
	s_delay_alu instid0(VALU_DEP_2) | instskip(NEXT) | instid1(VALU_DEP_3)
	v_add_co_u32 v29, vcc_lo, s16, v29
	v_add_co_ci_u32_e32 v30, vcc_lo, s17, v30, vcc_lo
	s_delay_alu instid0(VALU_DEP_3) | instskip(NEXT) | instid1(VALU_DEP_4)
	v_add_co_u32 v31, vcc_lo, s6, v21
	v_add_co_ci_u32_e32 v32, vcc_lo, s7, v22, vcc_lo
	global_load_b32 v18, v[29:30], off
	global_load_b32 v29, v[31:32], off
	s_waitcnt vmcnt(0)
	v_cmpx_eq_u32_e64 v18, v29
	s_cbranch_execz .LBB65_9
; %bb.11:                               ;   in Loop: Header=BB65_10 Depth=3
	v_add_co_u32 v21, vcc_lo, s8, v21
	v_add_co_ci_u32_e32 v22, vcc_lo, s9, v22, vcc_lo
	v_lshlrev_b64 v[30:31], 4, v[19:20]
	global_load_b32 v21, v[21:22], off
	v_add_co_u32 v30, vcc_lo, s10, v30
	v_add_co_ci_u32_e32 v31, vcc_lo, s11, v31, vcc_lo
	s_waitcnt vmcnt(0)
	v_ashrrev_i32_e32 v22, 31, v21
	s_delay_alu instid0(VALU_DEP_1) | instskip(NEXT) | instid1(VALU_DEP_1)
	v_lshlrev_b64 v[20:21], 4, v[21:22]
	v_add_co_u32 v20, vcc_lo, s10, v20
	s_delay_alu instid0(VALU_DEP_2)
	v_add_co_ci_u32_e32 v21, vcc_lo, s11, v21, vcc_lo
	s_clause 0x1
	global_load_b128 v[30:33], v[30:31], off
	global_load_b128 v[34:37], v[20:21], off
	s_waitcnt vmcnt(0)
	v_fma_f64 v[13:14], v[30:31], v[34:35], v[13:14]
	v_fma_f64 v[15:16], v[32:33], v[34:35], v[15:16]
	s_delay_alu instid0(VALU_DEP_2) | instskip(NEXT) | instid1(VALU_DEP_2)
	v_fma_f64 v[13:14], -v[32:33], v[36:37], v[13:14]
	v_fma_f64 v[15:16], v[30:31], v[36:37], v[15:16]
	s_branch .LBB65_9
.LBB65_12:                              ;   in Loop: Header=BB65_7 Depth=2
	s_or_b32 exec_lo, exec_lo, s33
.LBB65_13:                              ;   in Loop: Header=BB65_7 Depth=2
	s_delay_alu instid0(SALU_CYCLE_1)
	s_or_b32 exec_lo, exec_lo, s31
	s_waitcnt vmcnt(1)
	v_add_f64 v[0:1], v[0:1], -v[13:14]
	v_add_f64 v[2:3], v[2:3], -v[15:16]
	s_mov_b32 s1, exec_lo
	v_cmpx_gt_i32_e64 v8, v12
	s_cbranch_execz .LBB65_15
; %bb.14:                               ;   in Loop: Header=BB65_7 Depth=2
	s_waitcnt vmcnt(0)
	v_mul_f64 v[12:13], v[6:7], v[6:7]
	s_delay_alu instid0(VALU_DEP_1) | instskip(NEXT) | instid1(VALU_DEP_1)
	v_fma_f64 v[12:13], v[4:5], v[4:5], v[12:13]
	v_div_scale_f64 v[14:15], null, v[12:13], v[12:13], 1.0
	v_div_scale_f64 v[20:21], vcc_lo, 1.0, v[12:13], 1.0
	s_delay_alu instid0(VALU_DEP_2) | instskip(SKIP_2) | instid1(VALU_DEP_1)
	v_rcp_f64_e32 v[16:17], v[14:15]
	s_waitcnt_depctr 0xfff
	v_fma_f64 v[18:19], -v[14:15], v[16:17], 1.0
	v_fma_f64 v[16:17], v[16:17], v[18:19], v[16:17]
	s_delay_alu instid0(VALU_DEP_1) | instskip(NEXT) | instid1(VALU_DEP_1)
	v_fma_f64 v[18:19], -v[14:15], v[16:17], 1.0
	v_fma_f64 v[16:17], v[16:17], v[18:19], v[16:17]
	s_delay_alu instid0(VALU_DEP_1) | instskip(NEXT) | instid1(VALU_DEP_1)
	v_mul_f64 v[18:19], v[20:21], v[16:17]
	v_fma_f64 v[14:15], -v[14:15], v[18:19], v[20:21]
	s_delay_alu instid0(VALU_DEP_1) | instskip(SKIP_2) | instid1(VALU_DEP_3)
	v_div_fmas_f64 v[14:15], v[14:15], v[16:17], v[18:19]
	v_mul_f64 v[16:17], v[6:7], v[2:3]
	v_mul_f64 v[6:7], v[6:7], -v[0:1]
	v_div_fixup_f64 v[12:13], v[14:15], v[12:13], 1.0
	s_delay_alu instid0(VALU_DEP_3) | instskip(NEXT) | instid1(VALU_DEP_3)
	v_fma_f64 v[0:1], v[0:1], v[4:5], v[16:17]
	v_fma_f64 v[2:3], v[2:3], v[4:5], v[6:7]
	s_delay_alu instid0(VALU_DEP_2) | instskip(NEXT) | instid1(VALU_DEP_2)
	v_mul_f64 v[0:1], v[12:13], v[0:1]
	v_mul_f64 v[2:3], v[12:13], v[2:3]
.LBB65_15:                              ;   in Loop: Header=BB65_7 Depth=2
	s_or_b32 exec_lo, exec_lo, s1
	s_delay_alu instid0(VALU_DEP_2) | instskip(NEXT) | instid1(VALU_DEP_2)
	v_cmp_gt_f64_e32 vcc_lo, 0, v[0:1]
	v_cmp_gt_f64_e64 s1, 0, v[2:3]
	s_waitcnt vmcnt(0)
	v_xor_b32_e32 v4, 0x80000000, v1
	v_xor_b32_e32 v6, 0x80000000, v3
                                        ; implicit-def: $vgpr12_vgpr13
	s_delay_alu instid0(VALU_DEP_2) | instskip(NEXT) | instid1(VALU_DEP_2)
	v_cndmask_b32_e32 v5, v1, v4, vcc_lo
	v_cndmask_b32_e64 v7, v3, v6, s1
	v_cndmask_b32_e32 v4, v0, v0, vcc_lo
	v_cndmask_b32_e64 v6, v2, v2, s1
	s_mov_b32 s1, exec_lo
	s_delay_alu instid0(VALU_DEP_1)
	v_cmpx_ngt_f64_e32 v[4:5], v[6:7]
	s_xor_b32 s1, exec_lo, s1
	s_cbranch_execnz .LBB65_18
; %bb.16:                               ;   in Loop: Header=BB65_7 Depth=2
	s_and_not1_saveexec_b32 s1, s1
	s_cbranch_execnz .LBB65_21
.LBB65_17:                              ;   in Loop: Header=BB65_7 Depth=2
	s_or_b32 exec_lo, exec_lo, s1
	s_delay_alu instid0(VALU_DEP_1) | instskip(NEXT) | instid1(VALU_DEP_1)
	v_cmp_class_f64_e64 s31, v[12:13], 0x1f8
	s_and_saveexec_b32 s1, s31
	s_cbranch_execz .LBB65_6
	s_branch .LBB65_22
.LBB65_18:                              ;   in Loop: Header=BB65_7 Depth=2
	v_mov_b32_e32 v12, 0
	v_mov_b32_e32 v13, 0
	s_mov_b32 s31, exec_lo
	v_cmpx_neq_f64_e32 0, v[2:3]
	s_cbranch_execz .LBB65_20
; %bb.19:                               ;   in Loop: Header=BB65_7 Depth=2
	v_div_scale_f64 v[12:13], null, v[6:7], v[6:7], v[4:5]
	v_div_scale_f64 v[18:19], vcc_lo, v[4:5], v[6:7], v[4:5]
	s_delay_alu instid0(VALU_DEP_2) | instskip(SKIP_2) | instid1(VALU_DEP_1)
	v_rcp_f64_e32 v[14:15], v[12:13]
	s_waitcnt_depctr 0xfff
	v_fma_f64 v[16:17], -v[12:13], v[14:15], 1.0
	v_fma_f64 v[14:15], v[14:15], v[16:17], v[14:15]
	s_delay_alu instid0(VALU_DEP_1) | instskip(NEXT) | instid1(VALU_DEP_1)
	v_fma_f64 v[16:17], -v[12:13], v[14:15], 1.0
	v_fma_f64 v[14:15], v[14:15], v[16:17], v[14:15]
	s_delay_alu instid0(VALU_DEP_1) | instskip(NEXT) | instid1(VALU_DEP_1)
	v_mul_f64 v[16:17], v[18:19], v[14:15]
	v_fma_f64 v[12:13], -v[12:13], v[16:17], v[18:19]
	s_delay_alu instid0(VALU_DEP_1) | instskip(NEXT) | instid1(VALU_DEP_1)
	v_div_fmas_f64 v[12:13], v[12:13], v[14:15], v[16:17]
	v_div_fixup_f64 v[4:5], v[12:13], v[6:7], v[4:5]
	s_delay_alu instid0(VALU_DEP_1) | instskip(NEXT) | instid1(VALU_DEP_1)
	v_fma_f64 v[4:5], v[4:5], v[4:5], 1.0
	v_cmp_gt_f64_e32 vcc_lo, 0x10000000, v[4:5]
	v_cndmask_b32_e64 v12, 0, 1, vcc_lo
	s_delay_alu instid0(VALU_DEP_1) | instskip(NEXT) | instid1(VALU_DEP_1)
	v_lshlrev_b32_e32 v12, 8, v12
	v_ldexp_f64 v[4:5], v[4:5], v12
	s_delay_alu instid0(VALU_DEP_1) | instskip(SKIP_3) | instid1(VALU_DEP_1)
	v_rsq_f64_e32 v[12:13], v[4:5]
	s_waitcnt_depctr 0xfff
	v_mul_f64 v[14:15], v[4:5], v[12:13]
	v_mul_f64 v[12:13], v[12:13], 0.5
	v_fma_f64 v[16:17], -v[12:13], v[14:15], 0.5
	s_delay_alu instid0(VALU_DEP_1) | instskip(SKIP_1) | instid1(VALU_DEP_2)
	v_fma_f64 v[14:15], v[14:15], v[16:17], v[14:15]
	v_fma_f64 v[12:13], v[12:13], v[16:17], v[12:13]
	v_fma_f64 v[16:17], -v[14:15], v[14:15], v[4:5]
	s_delay_alu instid0(VALU_DEP_1) | instskip(NEXT) | instid1(VALU_DEP_1)
	v_fma_f64 v[14:15], v[16:17], v[12:13], v[14:15]
	v_fma_f64 v[16:17], -v[14:15], v[14:15], v[4:5]
	s_delay_alu instid0(VALU_DEP_1) | instskip(SKIP_2) | instid1(VALU_DEP_2)
	v_fma_f64 v[12:13], v[16:17], v[12:13], v[14:15]
	v_cndmask_b32_e64 v14, 0, 0xffffff80, vcc_lo
	v_cmp_class_f64_e64 vcc_lo, v[4:5], 0x260
	v_ldexp_f64 v[12:13], v[12:13], v14
	s_delay_alu instid0(VALU_DEP_1) | instskip(NEXT) | instid1(VALU_DEP_1)
	v_dual_cndmask_b32 v5, v13, v5 :: v_dual_cndmask_b32 v4, v12, v4
	v_mul_f64 v[12:13], v[6:7], v[4:5]
.LBB65_20:                              ;   in Loop: Header=BB65_7 Depth=2
	s_or_b32 exec_lo, exec_lo, s31
                                        ; implicit-def: $vgpr4_vgpr5
                                        ; implicit-def: $vgpr6_vgpr7
	s_and_not1_saveexec_b32 s1, s1
	s_cbranch_execz .LBB65_17
.LBB65_21:                              ;   in Loop: Header=BB65_7 Depth=2
	v_div_scale_f64 v[12:13], null, v[4:5], v[4:5], v[6:7]
	v_div_scale_f64 v[18:19], vcc_lo, v[6:7], v[4:5], v[6:7]
	s_delay_alu instid0(VALU_DEP_2) | instskip(SKIP_2) | instid1(VALU_DEP_1)
	v_rcp_f64_e32 v[14:15], v[12:13]
	s_waitcnt_depctr 0xfff
	v_fma_f64 v[16:17], -v[12:13], v[14:15], 1.0
	v_fma_f64 v[14:15], v[14:15], v[16:17], v[14:15]
	s_delay_alu instid0(VALU_DEP_1) | instskip(NEXT) | instid1(VALU_DEP_1)
	v_fma_f64 v[16:17], -v[12:13], v[14:15], 1.0
	v_fma_f64 v[14:15], v[14:15], v[16:17], v[14:15]
	s_delay_alu instid0(VALU_DEP_1) | instskip(NEXT) | instid1(VALU_DEP_1)
	v_mul_f64 v[16:17], v[18:19], v[14:15]
	v_fma_f64 v[12:13], -v[12:13], v[16:17], v[18:19]
	s_delay_alu instid0(VALU_DEP_1) | instskip(NEXT) | instid1(VALU_DEP_1)
	v_div_fmas_f64 v[12:13], v[12:13], v[14:15], v[16:17]
	v_div_fixup_f64 v[6:7], v[12:13], v[4:5], v[6:7]
	s_delay_alu instid0(VALU_DEP_1) | instskip(NEXT) | instid1(VALU_DEP_1)
	v_fma_f64 v[6:7], v[6:7], v[6:7], 1.0
	v_cmp_gt_f64_e32 vcc_lo, 0x10000000, v[6:7]
	v_cndmask_b32_e64 v12, 0, 1, vcc_lo
	s_delay_alu instid0(VALU_DEP_1) | instskip(NEXT) | instid1(VALU_DEP_1)
	v_lshlrev_b32_e32 v12, 8, v12
	v_ldexp_f64 v[6:7], v[6:7], v12
	s_delay_alu instid0(VALU_DEP_1) | instskip(SKIP_3) | instid1(VALU_DEP_1)
	v_rsq_f64_e32 v[12:13], v[6:7]
	s_waitcnt_depctr 0xfff
	v_mul_f64 v[14:15], v[6:7], v[12:13]
	v_mul_f64 v[12:13], v[12:13], 0.5
	v_fma_f64 v[16:17], -v[12:13], v[14:15], 0.5
	s_delay_alu instid0(VALU_DEP_1) | instskip(SKIP_1) | instid1(VALU_DEP_2)
	v_fma_f64 v[14:15], v[14:15], v[16:17], v[14:15]
	v_fma_f64 v[12:13], v[12:13], v[16:17], v[12:13]
	v_fma_f64 v[16:17], -v[14:15], v[14:15], v[6:7]
	s_delay_alu instid0(VALU_DEP_1) | instskip(NEXT) | instid1(VALU_DEP_1)
	v_fma_f64 v[14:15], v[16:17], v[12:13], v[14:15]
	v_fma_f64 v[16:17], -v[14:15], v[14:15], v[6:7]
	s_delay_alu instid0(VALU_DEP_1) | instskip(SKIP_2) | instid1(VALU_DEP_2)
	v_fma_f64 v[12:13], v[16:17], v[12:13], v[14:15]
	v_cndmask_b32_e64 v14, 0, 0xffffff80, vcc_lo
	v_cmp_class_f64_e64 vcc_lo, v[6:7], 0x260
	v_ldexp_f64 v[12:13], v[12:13], v14
	s_delay_alu instid0(VALU_DEP_1) | instskip(NEXT) | instid1(VALU_DEP_1)
	v_dual_cndmask_b32 v7, v13, v7 :: v_dual_cndmask_b32 v6, v12, v6
	v_mul_f64 v[12:13], v[4:5], v[6:7]
	s_or_b32 exec_lo, exec_lo, s1
	s_delay_alu instid0(VALU_DEP_1) | instskip(NEXT) | instid1(VALU_DEP_1)
	v_cmp_class_f64_e64 s31, v[12:13], 0x1f8
	s_and_saveexec_b32 s1, s31
	s_cbranch_execz .LBB65_6
.LBB65_22:                              ;   in Loop: Header=BB65_7 Depth=2
	v_add_co_u32 v4, vcc_lo, s10, v10
	v_add_co_ci_u32_e32 v5, vcc_lo, s11, v11, vcc_lo
	global_store_b128 v[4:5], v[0:3], off
	s_branch .LBB65_6
.LBB65_23:
	s_nop 0
	s_sendmsg sendmsg(MSG_DEALLOC_VGPRS)
	s_endpgm
	.section	.rodata,"a",@progbits
	.p2align	6, 0x0
	.amdhsa_kernel _ZN9rocsparseL16kernel_calculateILi1024ELi4ELb0E21rocsparse_complex_numIdEiiEEvT4_T3_PKS4_S6_PKS3_PKT2_21rocsparse_index_base_S6_S6_S8_S6_S6_S8_S6_PS9_PNS_15floating_traitsIS9_E6data_tEPKSG_
		.amdhsa_group_segment_fixed_size 0
		.amdhsa_private_segment_fixed_size 0
		.amdhsa_kernarg_size 128
		.amdhsa_user_sgpr_count 15
		.amdhsa_user_sgpr_dispatch_ptr 0
		.amdhsa_user_sgpr_queue_ptr 0
		.amdhsa_user_sgpr_kernarg_segment_ptr 1
		.amdhsa_user_sgpr_dispatch_id 0
		.amdhsa_user_sgpr_private_segment_size 0
		.amdhsa_wavefront_size32 1
		.amdhsa_uses_dynamic_stack 0
		.amdhsa_enable_private_segment 0
		.amdhsa_system_sgpr_workgroup_id_x 1
		.amdhsa_system_sgpr_workgroup_id_y 0
		.amdhsa_system_sgpr_workgroup_id_z 0
		.amdhsa_system_sgpr_workgroup_info 0
		.amdhsa_system_vgpr_workitem_id 0
		.amdhsa_next_free_vgpr 38
		.amdhsa_next_free_sgpr 34
		.amdhsa_reserve_vcc 1
		.amdhsa_float_round_mode_32 0
		.amdhsa_float_round_mode_16_64 0
		.amdhsa_float_denorm_mode_32 3
		.amdhsa_float_denorm_mode_16_64 3
		.amdhsa_dx10_clamp 1
		.amdhsa_ieee_mode 1
		.amdhsa_fp16_overflow 0
		.amdhsa_workgroup_processor_mode 1
		.amdhsa_memory_ordered 1
		.amdhsa_forward_progress 0
		.amdhsa_shared_vgpr_count 0
		.amdhsa_exception_fp_ieee_invalid_op 0
		.amdhsa_exception_fp_denorm_src 0
		.amdhsa_exception_fp_ieee_div_zero 0
		.amdhsa_exception_fp_ieee_overflow 0
		.amdhsa_exception_fp_ieee_underflow 0
		.amdhsa_exception_fp_ieee_inexact 0
		.amdhsa_exception_int_div_zero 0
	.end_amdhsa_kernel
	.section	.text._ZN9rocsparseL16kernel_calculateILi1024ELi4ELb0E21rocsparse_complex_numIdEiiEEvT4_T3_PKS4_S6_PKS3_PKT2_21rocsparse_index_base_S6_S6_S8_S6_S6_S8_S6_PS9_PNS_15floating_traitsIS9_E6data_tEPKSG_,"axG",@progbits,_ZN9rocsparseL16kernel_calculateILi1024ELi4ELb0E21rocsparse_complex_numIdEiiEEvT4_T3_PKS4_S6_PKS3_PKT2_21rocsparse_index_base_S6_S6_S8_S6_S6_S8_S6_PS9_PNS_15floating_traitsIS9_E6data_tEPKSG_,comdat
.Lfunc_end65:
	.size	_ZN9rocsparseL16kernel_calculateILi1024ELi4ELb0E21rocsparse_complex_numIdEiiEEvT4_T3_PKS4_S6_PKS3_PKT2_21rocsparse_index_base_S6_S6_S8_S6_S6_S8_S6_PS9_PNS_15floating_traitsIS9_E6data_tEPKSG_, .Lfunc_end65-_ZN9rocsparseL16kernel_calculateILi1024ELi4ELb0E21rocsparse_complex_numIdEiiEEvT4_T3_PKS4_S6_PKS3_PKT2_21rocsparse_index_base_S6_S6_S8_S6_S6_S8_S6_PS9_PNS_15floating_traitsIS9_E6data_tEPKSG_
                                        ; -- End function
	.section	.AMDGPU.csdata,"",@progbits
; Kernel info:
; codeLenInByte = 1976
; NumSgprs: 36
; NumVgprs: 38
; ScratchSize: 0
; MemoryBound: 1
; FloatMode: 240
; IeeeMode: 1
; LDSByteSize: 0 bytes/workgroup (compile time only)
; SGPRBlocks: 4
; VGPRBlocks: 4
; NumSGPRsForWavesPerEU: 36
; NumVGPRsForWavesPerEU: 38
; Occupancy: 16
; WaveLimiterHint : 1
; COMPUTE_PGM_RSRC2:SCRATCH_EN: 0
; COMPUTE_PGM_RSRC2:USER_SGPR: 15
; COMPUTE_PGM_RSRC2:TRAP_HANDLER: 0
; COMPUTE_PGM_RSRC2:TGID_X_EN: 1
; COMPUTE_PGM_RSRC2:TGID_Y_EN: 0
; COMPUTE_PGM_RSRC2:TGID_Z_EN: 0
; COMPUTE_PGM_RSRC2:TIDIG_COMP_CNT: 0
	.section	.text._ZN9rocsparseL16kernel_calculateILi1024ELi8ELb0E21rocsparse_complex_numIdEiiEEvT4_T3_PKS4_S6_PKS3_PKT2_21rocsparse_index_base_S6_S6_S8_S6_S6_S8_S6_PS9_PNS_15floating_traitsIS9_E6data_tEPKSG_,"axG",@progbits,_ZN9rocsparseL16kernel_calculateILi1024ELi8ELb0E21rocsparse_complex_numIdEiiEEvT4_T3_PKS4_S6_PKS3_PKT2_21rocsparse_index_base_S6_S6_S8_S6_S6_S8_S6_PS9_PNS_15floating_traitsIS9_E6data_tEPKSG_,comdat
	.globl	_ZN9rocsparseL16kernel_calculateILi1024ELi8ELb0E21rocsparse_complex_numIdEiiEEvT4_T3_PKS4_S6_PKS3_PKT2_21rocsparse_index_base_S6_S6_S8_S6_S6_S8_S6_PS9_PNS_15floating_traitsIS9_E6data_tEPKSG_ ; -- Begin function _ZN9rocsparseL16kernel_calculateILi1024ELi8ELb0E21rocsparse_complex_numIdEiiEEvT4_T3_PKS4_S6_PKS3_PKT2_21rocsparse_index_base_S6_S6_S8_S6_S6_S8_S6_PS9_PNS_15floating_traitsIS9_E6data_tEPKSG_
	.p2align	8
	.type	_ZN9rocsparseL16kernel_calculateILi1024ELi8ELb0E21rocsparse_complex_numIdEiiEEvT4_T3_PKS4_S6_PKS3_PKT2_21rocsparse_index_base_S6_S6_S8_S6_S6_S8_S6_PS9_PNS_15floating_traitsIS9_E6data_tEPKSG_,@function
_ZN9rocsparseL16kernel_calculateILi1024ELi8ELb0E21rocsparse_complex_numIdEiiEEvT4_T3_PKS4_S6_PKS3_PKT2_21rocsparse_index_base_S6_S6_S8_S6_S6_S8_S6_PS9_PNS_15floating_traitsIS9_E6data_tEPKSG_: ; @_ZN9rocsparseL16kernel_calculateILi1024ELi8ELb0E21rocsparse_complex_numIdEiiEEvT4_T3_PKS4_S6_PKS3_PKT2_21rocsparse_index_base_S6_S6_S8_S6_S6_S8_S6_PS9_PNS_15floating_traitsIS9_E6data_tEPKSG_
; %bb.0:
	s_load_b32 s2, s[0:1], 0x0
	v_lshrrev_b32_e32 v1, 3, v0
	s_mov_b32 s3, exec_lo
	s_delay_alu instid0(VALU_DEP_1) | instskip(SKIP_1) | instid1(VALU_DEP_1)
	v_lshl_or_b32 v23, s15, 10, v1
	s_waitcnt lgkmcnt(0)
	v_cmpx_gt_i32_e64 s2, v23
	s_cbranch_execz .LBB66_23
; %bb.1:
	s_clause 0x3
	s_load_b32 s3, s[0:1], 0x28
	s_load_b256 s[4:11], s[0:1], 0x50
	s_load_b256 s[12:19], s[0:1], 0x30
	s_load_b256 s[20:27], s[0:1], 0x8
	v_and_b32_e32 v0, 7, v0
	s_mov_b32 s28, 0
	s_waitcnt lgkmcnt(0)
	s_delay_alu instid0(VALU_DEP_1)
	v_subrev_nc_u32_e32 v24, s3, v0
	s_branch .LBB66_3
.LBB66_2:                               ;   in Loop: Header=BB66_3 Depth=1
	s_or_b32 exec_lo, exec_lo, s29
	s_add_i32 s28, s28, 1
	s_delay_alu instid0(SALU_CYCLE_1)
	s_cmp_lg_u32 s28, 8
	s_cbranch_scc0 .LBB66_23
.LBB66_3:                               ; =>This Loop Header: Depth=1
                                        ;     Child Loop BB66_7 Depth 2
                                        ;       Child Loop BB66_10 Depth 3
	v_lshl_add_u32 v8, s28, 7, v23
	s_mov_b32 s29, exec_lo
	s_delay_alu instid0(VALU_DEP_1)
	v_cmpx_gt_i32_e64 s2, v8
	s_cbranch_execz .LBB66_2
; %bb.4:                                ;   in Loop: Header=BB66_3 Depth=1
	v_ashrrev_i32_e32 v9, 31, v8
	s_delay_alu instid0(VALU_DEP_1) | instskip(NEXT) | instid1(VALU_DEP_1)
	v_lshlrev_b64 v[0:1], 2, v[8:9]
	v_add_co_u32 v2, vcc_lo, s22, v0
	s_delay_alu instid0(VALU_DEP_2)
	v_add_co_ci_u32_e32 v3, vcc_lo, s23, v1, vcc_lo
	v_add_co_u32 v4, vcc_lo, s20, v0
	v_add_co_ci_u32_e32 v5, vcc_lo, s21, v1, vcc_lo
	global_load_b32 v2, v[2:3], off
	global_load_b32 v3, v[4:5], off
	s_waitcnt vmcnt(1)
	v_subrev_nc_u32_e32 v25, s3, v2
	s_waitcnt vmcnt(0)
	v_add_nc_u32_e32 v9, v24, v3
	s_delay_alu instid0(VALU_DEP_1)
	v_cmp_lt_i32_e32 vcc_lo, v9, v25
	s_and_b32 exec_lo, exec_lo, vcc_lo
	s_cbranch_execz .LBB66_2
; %bb.5:                                ;   in Loop: Header=BB66_3 Depth=1
	v_add_co_u32 v2, vcc_lo, s14, v0
	v_add_co_ci_u32_e32 v3, vcc_lo, s15, v1, vcc_lo
	v_add_co_u32 v0, vcc_lo, s12, v0
	v_add_co_ci_u32_e32 v1, vcc_lo, s13, v1, vcc_lo
	s_mov_b32 s30, 0
	global_load_b32 v2, v[2:3], off
	global_load_b32 v0, v[0:1], off
	s_waitcnt vmcnt(1)
	v_subrev_nc_u32_e32 v26, s3, v2
	s_waitcnt vmcnt(0)
	v_cmp_lt_i32_e64 s0, v0, v2
	v_subrev_nc_u32_e32 v27, s3, v0
	s_branch .LBB66_7
.LBB66_6:                               ;   in Loop: Header=BB66_7 Depth=2
	s_or_b32 exec_lo, exec_lo, s1
	v_add_nc_u32_e32 v9, 8, v9
	s_delay_alu instid0(VALU_DEP_1) | instskip(SKIP_1) | instid1(SALU_CYCLE_1)
	v_cmp_ge_i32_e32 vcc_lo, v9, v25
	s_or_b32 s30, vcc_lo, s30
	s_and_not1_b32 exec_lo, exec_lo, s30
	s_cbranch_execz .LBB66_2
.LBB66_7:                               ;   Parent Loop BB66_3 Depth=1
                                        ; =>  This Loop Header: Depth=2
                                        ;       Child Loop BB66_10 Depth 3
	v_ashrrev_i32_e32 v10, 31, v9
	s_delay_alu instid0(VALU_DEP_1) | instskip(SKIP_1) | instid1(VALU_DEP_2)
	v_lshlrev_b64 v[0:1], 2, v[9:10]
	v_lshlrev_b64 v[10:11], 4, v[9:10]
	v_add_co_u32 v0, vcc_lo, s24, v0
	s_delay_alu instid0(VALU_DEP_3) | instskip(SKIP_3) | instid1(VALU_DEP_1)
	v_add_co_ci_u32_e32 v1, vcc_lo, s25, v1, vcc_lo
	global_load_b32 v0, v[0:1], off
	s_waitcnt vmcnt(0)
	v_subrev_nc_u32_e32 v12, s3, v0
	v_ashrrev_i32_e32 v13, 31, v12
	s_delay_alu instid0(VALU_DEP_1) | instskip(SKIP_2) | instid1(VALU_DEP_3)
	v_lshlrev_b64 v[0:1], 2, v[12:13]
	v_mov_b32_e32 v13, 0
	v_mov_b32_e32 v14, 0
	v_add_co_u32 v2, vcc_lo, s14, v0
	s_delay_alu instid0(VALU_DEP_4)
	v_add_co_ci_u32_e32 v3, vcc_lo, s15, v1, vcc_lo
	v_add_co_u32 v4, vcc_lo, s4, v0
	v_add_co_ci_u32_e32 v5, vcc_lo, s5, v1, vcc_lo
	global_load_b32 v2, v[2:3], off
	v_add_co_u32 v0, vcc_lo, s18, v0
	v_add_co_ci_u32_e32 v1, vcc_lo, s19, v1, vcc_lo
	v_add_co_u32 v6, vcc_lo, s26, v10
	v_add_co_ci_u32_e32 v7, vcc_lo, s27, v11, vcc_lo
	global_load_b32 v17, v[4:5], off
	global_load_b32 v18, v[0:1], off
	v_dual_mov_b32 v16, v14 :: v_dual_mov_b32 v15, v13
	s_waitcnt vmcnt(2)
	v_subrev_nc_u32_e32 v2, s3, v2
	s_delay_alu instid0(VALU_DEP_1) | instskip(NEXT) | instid1(VALU_DEP_1)
	v_ashrrev_i32_e32 v3, 31, v2
	v_lshlrev_b64 v[2:3], 4, v[2:3]
	s_delay_alu instid0(VALU_DEP_1) | instskip(NEXT) | instid1(VALU_DEP_2)
	v_add_co_u32 v4, vcc_lo, s10, v2
	v_add_co_ci_u32_e32 v5, vcc_lo, s11, v3, vcc_lo
	s_waitcnt vmcnt(0)
	v_cmp_lt_i32_e32 vcc_lo, v18, v17
	global_load_b128 v[0:3], v[6:7], off
	global_load_b128 v[4:7], v[4:5], off
	s_and_b32 s1, s0, vcc_lo
	s_delay_alu instid0(SALU_CYCLE_1)
	s_and_saveexec_b32 s31, s1
	s_cbranch_execz .LBB66_13
; %bb.8:                                ;   in Loop: Header=BB66_7 Depth=2
	v_mov_b32_e32 v13, 0
	v_dual_mov_b32 v14, 0 :: v_dual_mov_b32 v19, v27
	v_subrev_nc_u32_e32 v28, s3, v17
	v_subrev_nc_u32_e32 v17, s3, v18
	s_mov_b32 s33, 0
	s_delay_alu instid0(VALU_DEP_3)
	v_dual_mov_b32 v16, v14 :: v_dual_mov_b32 v15, v13
	s_branch .LBB66_10
.LBB66_9:                               ;   in Loop: Header=BB66_10 Depth=3
	s_or_b32 exec_lo, exec_lo, s1
	v_cmp_le_i32_e32 vcc_lo, v18, v29
	v_add_co_ci_u32_e32 v19, vcc_lo, 0, v19, vcc_lo
	v_cmp_ge_i32_e32 vcc_lo, v18, v29
	v_add_co_ci_u32_e32 v17, vcc_lo, 0, v17, vcc_lo
	s_delay_alu instid0(VALU_DEP_3) | instskip(NEXT) | instid1(VALU_DEP_2)
	v_cmp_ge_i32_e32 vcc_lo, v19, v26
	v_cmp_ge_i32_e64 s1, v17, v28
	s_delay_alu instid0(VALU_DEP_1) | instskip(NEXT) | instid1(SALU_CYCLE_1)
	s_or_b32 s1, vcc_lo, s1
	s_and_b32 s1, exec_lo, s1
	s_delay_alu instid0(SALU_CYCLE_1) | instskip(NEXT) | instid1(SALU_CYCLE_1)
	s_or_b32 s33, s1, s33
	s_and_not1_b32 exec_lo, exec_lo, s33
	s_cbranch_execz .LBB66_12
.LBB66_10:                              ;   Parent Loop BB66_3 Depth=1
                                        ;     Parent Loop BB66_7 Depth=2
                                        ; =>    This Inner Loop Header: Depth=3
	v_ashrrev_i32_e32 v20, 31, v19
	v_ashrrev_i32_e32 v18, 31, v17
	s_mov_b32 s1, exec_lo
	s_delay_alu instid0(VALU_DEP_2) | instskip(NEXT) | instid1(VALU_DEP_2)
	v_lshlrev_b64 v[29:30], 2, v[19:20]
	v_lshlrev_b64 v[21:22], 2, v[17:18]
	s_delay_alu instid0(VALU_DEP_2) | instskip(NEXT) | instid1(VALU_DEP_3)
	v_add_co_u32 v29, vcc_lo, s16, v29
	v_add_co_ci_u32_e32 v30, vcc_lo, s17, v30, vcc_lo
	s_delay_alu instid0(VALU_DEP_3) | instskip(NEXT) | instid1(VALU_DEP_4)
	v_add_co_u32 v31, vcc_lo, s6, v21
	v_add_co_ci_u32_e32 v32, vcc_lo, s7, v22, vcc_lo
	global_load_b32 v18, v[29:30], off
	global_load_b32 v29, v[31:32], off
	s_waitcnt vmcnt(0)
	v_cmpx_eq_u32_e64 v18, v29
	s_cbranch_execz .LBB66_9
; %bb.11:                               ;   in Loop: Header=BB66_10 Depth=3
	v_add_co_u32 v21, vcc_lo, s8, v21
	v_add_co_ci_u32_e32 v22, vcc_lo, s9, v22, vcc_lo
	v_lshlrev_b64 v[30:31], 4, v[19:20]
	global_load_b32 v21, v[21:22], off
	v_add_co_u32 v30, vcc_lo, s10, v30
	v_add_co_ci_u32_e32 v31, vcc_lo, s11, v31, vcc_lo
	s_waitcnt vmcnt(0)
	v_ashrrev_i32_e32 v22, 31, v21
	s_delay_alu instid0(VALU_DEP_1) | instskip(NEXT) | instid1(VALU_DEP_1)
	v_lshlrev_b64 v[20:21], 4, v[21:22]
	v_add_co_u32 v20, vcc_lo, s10, v20
	s_delay_alu instid0(VALU_DEP_2)
	v_add_co_ci_u32_e32 v21, vcc_lo, s11, v21, vcc_lo
	s_clause 0x1
	global_load_b128 v[30:33], v[30:31], off
	global_load_b128 v[34:37], v[20:21], off
	s_waitcnt vmcnt(0)
	v_fma_f64 v[13:14], v[30:31], v[34:35], v[13:14]
	v_fma_f64 v[15:16], v[32:33], v[34:35], v[15:16]
	s_delay_alu instid0(VALU_DEP_2) | instskip(NEXT) | instid1(VALU_DEP_2)
	v_fma_f64 v[13:14], -v[32:33], v[36:37], v[13:14]
	v_fma_f64 v[15:16], v[30:31], v[36:37], v[15:16]
	s_branch .LBB66_9
.LBB66_12:                              ;   in Loop: Header=BB66_7 Depth=2
	s_or_b32 exec_lo, exec_lo, s33
.LBB66_13:                              ;   in Loop: Header=BB66_7 Depth=2
	s_delay_alu instid0(SALU_CYCLE_1)
	s_or_b32 exec_lo, exec_lo, s31
	s_waitcnt vmcnt(1)
	v_add_f64 v[0:1], v[0:1], -v[13:14]
	v_add_f64 v[2:3], v[2:3], -v[15:16]
	s_mov_b32 s1, exec_lo
	v_cmpx_gt_i32_e64 v8, v12
	s_cbranch_execz .LBB66_15
; %bb.14:                               ;   in Loop: Header=BB66_7 Depth=2
	s_waitcnt vmcnt(0)
	v_mul_f64 v[12:13], v[6:7], v[6:7]
	s_delay_alu instid0(VALU_DEP_1) | instskip(NEXT) | instid1(VALU_DEP_1)
	v_fma_f64 v[12:13], v[4:5], v[4:5], v[12:13]
	v_div_scale_f64 v[14:15], null, v[12:13], v[12:13], 1.0
	v_div_scale_f64 v[20:21], vcc_lo, 1.0, v[12:13], 1.0
	s_delay_alu instid0(VALU_DEP_2) | instskip(SKIP_2) | instid1(VALU_DEP_1)
	v_rcp_f64_e32 v[16:17], v[14:15]
	s_waitcnt_depctr 0xfff
	v_fma_f64 v[18:19], -v[14:15], v[16:17], 1.0
	v_fma_f64 v[16:17], v[16:17], v[18:19], v[16:17]
	s_delay_alu instid0(VALU_DEP_1) | instskip(NEXT) | instid1(VALU_DEP_1)
	v_fma_f64 v[18:19], -v[14:15], v[16:17], 1.0
	v_fma_f64 v[16:17], v[16:17], v[18:19], v[16:17]
	s_delay_alu instid0(VALU_DEP_1) | instskip(NEXT) | instid1(VALU_DEP_1)
	v_mul_f64 v[18:19], v[20:21], v[16:17]
	v_fma_f64 v[14:15], -v[14:15], v[18:19], v[20:21]
	s_delay_alu instid0(VALU_DEP_1) | instskip(SKIP_2) | instid1(VALU_DEP_3)
	v_div_fmas_f64 v[14:15], v[14:15], v[16:17], v[18:19]
	v_mul_f64 v[16:17], v[6:7], v[2:3]
	v_mul_f64 v[6:7], v[6:7], -v[0:1]
	v_div_fixup_f64 v[12:13], v[14:15], v[12:13], 1.0
	s_delay_alu instid0(VALU_DEP_3) | instskip(NEXT) | instid1(VALU_DEP_3)
	v_fma_f64 v[0:1], v[0:1], v[4:5], v[16:17]
	v_fma_f64 v[2:3], v[2:3], v[4:5], v[6:7]
	s_delay_alu instid0(VALU_DEP_2) | instskip(NEXT) | instid1(VALU_DEP_2)
	v_mul_f64 v[0:1], v[12:13], v[0:1]
	v_mul_f64 v[2:3], v[12:13], v[2:3]
.LBB66_15:                              ;   in Loop: Header=BB66_7 Depth=2
	s_or_b32 exec_lo, exec_lo, s1
	s_delay_alu instid0(VALU_DEP_2) | instskip(NEXT) | instid1(VALU_DEP_2)
	v_cmp_gt_f64_e32 vcc_lo, 0, v[0:1]
	v_cmp_gt_f64_e64 s1, 0, v[2:3]
	s_waitcnt vmcnt(0)
	v_xor_b32_e32 v4, 0x80000000, v1
	v_xor_b32_e32 v6, 0x80000000, v3
                                        ; implicit-def: $vgpr12_vgpr13
	s_delay_alu instid0(VALU_DEP_2) | instskip(NEXT) | instid1(VALU_DEP_2)
	v_cndmask_b32_e32 v5, v1, v4, vcc_lo
	v_cndmask_b32_e64 v7, v3, v6, s1
	v_cndmask_b32_e32 v4, v0, v0, vcc_lo
	v_cndmask_b32_e64 v6, v2, v2, s1
	s_mov_b32 s1, exec_lo
	s_delay_alu instid0(VALU_DEP_1)
	v_cmpx_ngt_f64_e32 v[4:5], v[6:7]
	s_xor_b32 s1, exec_lo, s1
	s_cbranch_execnz .LBB66_18
; %bb.16:                               ;   in Loop: Header=BB66_7 Depth=2
	s_and_not1_saveexec_b32 s1, s1
	s_cbranch_execnz .LBB66_21
.LBB66_17:                              ;   in Loop: Header=BB66_7 Depth=2
	s_or_b32 exec_lo, exec_lo, s1
	s_delay_alu instid0(VALU_DEP_1) | instskip(NEXT) | instid1(VALU_DEP_1)
	v_cmp_class_f64_e64 s31, v[12:13], 0x1f8
	s_and_saveexec_b32 s1, s31
	s_cbranch_execz .LBB66_6
	s_branch .LBB66_22
.LBB66_18:                              ;   in Loop: Header=BB66_7 Depth=2
	v_mov_b32_e32 v12, 0
	v_mov_b32_e32 v13, 0
	s_mov_b32 s31, exec_lo
	v_cmpx_neq_f64_e32 0, v[2:3]
	s_cbranch_execz .LBB66_20
; %bb.19:                               ;   in Loop: Header=BB66_7 Depth=2
	v_div_scale_f64 v[12:13], null, v[6:7], v[6:7], v[4:5]
	v_div_scale_f64 v[18:19], vcc_lo, v[4:5], v[6:7], v[4:5]
	s_delay_alu instid0(VALU_DEP_2) | instskip(SKIP_2) | instid1(VALU_DEP_1)
	v_rcp_f64_e32 v[14:15], v[12:13]
	s_waitcnt_depctr 0xfff
	v_fma_f64 v[16:17], -v[12:13], v[14:15], 1.0
	v_fma_f64 v[14:15], v[14:15], v[16:17], v[14:15]
	s_delay_alu instid0(VALU_DEP_1) | instskip(NEXT) | instid1(VALU_DEP_1)
	v_fma_f64 v[16:17], -v[12:13], v[14:15], 1.0
	v_fma_f64 v[14:15], v[14:15], v[16:17], v[14:15]
	s_delay_alu instid0(VALU_DEP_1) | instskip(NEXT) | instid1(VALU_DEP_1)
	v_mul_f64 v[16:17], v[18:19], v[14:15]
	v_fma_f64 v[12:13], -v[12:13], v[16:17], v[18:19]
	s_delay_alu instid0(VALU_DEP_1) | instskip(NEXT) | instid1(VALU_DEP_1)
	v_div_fmas_f64 v[12:13], v[12:13], v[14:15], v[16:17]
	v_div_fixup_f64 v[4:5], v[12:13], v[6:7], v[4:5]
	s_delay_alu instid0(VALU_DEP_1) | instskip(NEXT) | instid1(VALU_DEP_1)
	v_fma_f64 v[4:5], v[4:5], v[4:5], 1.0
	v_cmp_gt_f64_e32 vcc_lo, 0x10000000, v[4:5]
	v_cndmask_b32_e64 v12, 0, 1, vcc_lo
	s_delay_alu instid0(VALU_DEP_1) | instskip(NEXT) | instid1(VALU_DEP_1)
	v_lshlrev_b32_e32 v12, 8, v12
	v_ldexp_f64 v[4:5], v[4:5], v12
	s_delay_alu instid0(VALU_DEP_1) | instskip(SKIP_3) | instid1(VALU_DEP_1)
	v_rsq_f64_e32 v[12:13], v[4:5]
	s_waitcnt_depctr 0xfff
	v_mul_f64 v[14:15], v[4:5], v[12:13]
	v_mul_f64 v[12:13], v[12:13], 0.5
	v_fma_f64 v[16:17], -v[12:13], v[14:15], 0.5
	s_delay_alu instid0(VALU_DEP_1) | instskip(SKIP_1) | instid1(VALU_DEP_2)
	v_fma_f64 v[14:15], v[14:15], v[16:17], v[14:15]
	v_fma_f64 v[12:13], v[12:13], v[16:17], v[12:13]
	v_fma_f64 v[16:17], -v[14:15], v[14:15], v[4:5]
	s_delay_alu instid0(VALU_DEP_1) | instskip(NEXT) | instid1(VALU_DEP_1)
	v_fma_f64 v[14:15], v[16:17], v[12:13], v[14:15]
	v_fma_f64 v[16:17], -v[14:15], v[14:15], v[4:5]
	s_delay_alu instid0(VALU_DEP_1) | instskip(SKIP_2) | instid1(VALU_DEP_2)
	v_fma_f64 v[12:13], v[16:17], v[12:13], v[14:15]
	v_cndmask_b32_e64 v14, 0, 0xffffff80, vcc_lo
	v_cmp_class_f64_e64 vcc_lo, v[4:5], 0x260
	v_ldexp_f64 v[12:13], v[12:13], v14
	s_delay_alu instid0(VALU_DEP_1) | instskip(NEXT) | instid1(VALU_DEP_1)
	v_dual_cndmask_b32 v5, v13, v5 :: v_dual_cndmask_b32 v4, v12, v4
	v_mul_f64 v[12:13], v[6:7], v[4:5]
.LBB66_20:                              ;   in Loop: Header=BB66_7 Depth=2
	s_or_b32 exec_lo, exec_lo, s31
                                        ; implicit-def: $vgpr4_vgpr5
                                        ; implicit-def: $vgpr6_vgpr7
	s_and_not1_saveexec_b32 s1, s1
	s_cbranch_execz .LBB66_17
.LBB66_21:                              ;   in Loop: Header=BB66_7 Depth=2
	v_div_scale_f64 v[12:13], null, v[4:5], v[4:5], v[6:7]
	v_div_scale_f64 v[18:19], vcc_lo, v[6:7], v[4:5], v[6:7]
	s_delay_alu instid0(VALU_DEP_2) | instskip(SKIP_2) | instid1(VALU_DEP_1)
	v_rcp_f64_e32 v[14:15], v[12:13]
	s_waitcnt_depctr 0xfff
	v_fma_f64 v[16:17], -v[12:13], v[14:15], 1.0
	v_fma_f64 v[14:15], v[14:15], v[16:17], v[14:15]
	s_delay_alu instid0(VALU_DEP_1) | instskip(NEXT) | instid1(VALU_DEP_1)
	v_fma_f64 v[16:17], -v[12:13], v[14:15], 1.0
	v_fma_f64 v[14:15], v[14:15], v[16:17], v[14:15]
	s_delay_alu instid0(VALU_DEP_1) | instskip(NEXT) | instid1(VALU_DEP_1)
	v_mul_f64 v[16:17], v[18:19], v[14:15]
	v_fma_f64 v[12:13], -v[12:13], v[16:17], v[18:19]
	s_delay_alu instid0(VALU_DEP_1) | instskip(NEXT) | instid1(VALU_DEP_1)
	v_div_fmas_f64 v[12:13], v[12:13], v[14:15], v[16:17]
	v_div_fixup_f64 v[6:7], v[12:13], v[4:5], v[6:7]
	s_delay_alu instid0(VALU_DEP_1) | instskip(NEXT) | instid1(VALU_DEP_1)
	v_fma_f64 v[6:7], v[6:7], v[6:7], 1.0
	v_cmp_gt_f64_e32 vcc_lo, 0x10000000, v[6:7]
	v_cndmask_b32_e64 v12, 0, 1, vcc_lo
	s_delay_alu instid0(VALU_DEP_1) | instskip(NEXT) | instid1(VALU_DEP_1)
	v_lshlrev_b32_e32 v12, 8, v12
	v_ldexp_f64 v[6:7], v[6:7], v12
	s_delay_alu instid0(VALU_DEP_1) | instskip(SKIP_3) | instid1(VALU_DEP_1)
	v_rsq_f64_e32 v[12:13], v[6:7]
	s_waitcnt_depctr 0xfff
	v_mul_f64 v[14:15], v[6:7], v[12:13]
	v_mul_f64 v[12:13], v[12:13], 0.5
	v_fma_f64 v[16:17], -v[12:13], v[14:15], 0.5
	s_delay_alu instid0(VALU_DEP_1) | instskip(SKIP_1) | instid1(VALU_DEP_2)
	v_fma_f64 v[14:15], v[14:15], v[16:17], v[14:15]
	v_fma_f64 v[12:13], v[12:13], v[16:17], v[12:13]
	v_fma_f64 v[16:17], -v[14:15], v[14:15], v[6:7]
	s_delay_alu instid0(VALU_DEP_1) | instskip(NEXT) | instid1(VALU_DEP_1)
	v_fma_f64 v[14:15], v[16:17], v[12:13], v[14:15]
	v_fma_f64 v[16:17], -v[14:15], v[14:15], v[6:7]
	s_delay_alu instid0(VALU_DEP_1) | instskip(SKIP_2) | instid1(VALU_DEP_2)
	v_fma_f64 v[12:13], v[16:17], v[12:13], v[14:15]
	v_cndmask_b32_e64 v14, 0, 0xffffff80, vcc_lo
	v_cmp_class_f64_e64 vcc_lo, v[6:7], 0x260
	v_ldexp_f64 v[12:13], v[12:13], v14
	s_delay_alu instid0(VALU_DEP_1) | instskip(NEXT) | instid1(VALU_DEP_1)
	v_dual_cndmask_b32 v7, v13, v7 :: v_dual_cndmask_b32 v6, v12, v6
	v_mul_f64 v[12:13], v[4:5], v[6:7]
	s_or_b32 exec_lo, exec_lo, s1
	s_delay_alu instid0(VALU_DEP_1) | instskip(NEXT) | instid1(VALU_DEP_1)
	v_cmp_class_f64_e64 s31, v[12:13], 0x1f8
	s_and_saveexec_b32 s1, s31
	s_cbranch_execz .LBB66_6
.LBB66_22:                              ;   in Loop: Header=BB66_7 Depth=2
	v_add_co_u32 v4, vcc_lo, s10, v10
	v_add_co_ci_u32_e32 v5, vcc_lo, s11, v11, vcc_lo
	global_store_b128 v[4:5], v[0:3], off
	s_branch .LBB66_6
.LBB66_23:
	s_nop 0
	s_sendmsg sendmsg(MSG_DEALLOC_VGPRS)
	s_endpgm
	.section	.rodata,"a",@progbits
	.p2align	6, 0x0
	.amdhsa_kernel _ZN9rocsparseL16kernel_calculateILi1024ELi8ELb0E21rocsparse_complex_numIdEiiEEvT4_T3_PKS4_S6_PKS3_PKT2_21rocsparse_index_base_S6_S6_S8_S6_S6_S8_S6_PS9_PNS_15floating_traitsIS9_E6data_tEPKSG_
		.amdhsa_group_segment_fixed_size 0
		.amdhsa_private_segment_fixed_size 0
		.amdhsa_kernarg_size 128
		.amdhsa_user_sgpr_count 15
		.amdhsa_user_sgpr_dispatch_ptr 0
		.amdhsa_user_sgpr_queue_ptr 0
		.amdhsa_user_sgpr_kernarg_segment_ptr 1
		.amdhsa_user_sgpr_dispatch_id 0
		.amdhsa_user_sgpr_private_segment_size 0
		.amdhsa_wavefront_size32 1
		.amdhsa_uses_dynamic_stack 0
		.amdhsa_enable_private_segment 0
		.amdhsa_system_sgpr_workgroup_id_x 1
		.amdhsa_system_sgpr_workgroup_id_y 0
		.amdhsa_system_sgpr_workgroup_id_z 0
		.amdhsa_system_sgpr_workgroup_info 0
		.amdhsa_system_vgpr_workitem_id 0
		.amdhsa_next_free_vgpr 38
		.amdhsa_next_free_sgpr 34
		.amdhsa_reserve_vcc 1
		.amdhsa_float_round_mode_32 0
		.amdhsa_float_round_mode_16_64 0
		.amdhsa_float_denorm_mode_32 3
		.amdhsa_float_denorm_mode_16_64 3
		.amdhsa_dx10_clamp 1
		.amdhsa_ieee_mode 1
		.amdhsa_fp16_overflow 0
		.amdhsa_workgroup_processor_mode 1
		.amdhsa_memory_ordered 1
		.amdhsa_forward_progress 0
		.amdhsa_shared_vgpr_count 0
		.amdhsa_exception_fp_ieee_invalid_op 0
		.amdhsa_exception_fp_denorm_src 0
		.amdhsa_exception_fp_ieee_div_zero 0
		.amdhsa_exception_fp_ieee_overflow 0
		.amdhsa_exception_fp_ieee_underflow 0
		.amdhsa_exception_fp_ieee_inexact 0
		.amdhsa_exception_int_div_zero 0
	.end_amdhsa_kernel
	.section	.text._ZN9rocsparseL16kernel_calculateILi1024ELi8ELb0E21rocsparse_complex_numIdEiiEEvT4_T3_PKS4_S6_PKS3_PKT2_21rocsparse_index_base_S6_S6_S8_S6_S6_S8_S6_PS9_PNS_15floating_traitsIS9_E6data_tEPKSG_,"axG",@progbits,_ZN9rocsparseL16kernel_calculateILi1024ELi8ELb0E21rocsparse_complex_numIdEiiEEvT4_T3_PKS4_S6_PKS3_PKT2_21rocsparse_index_base_S6_S6_S8_S6_S6_S8_S6_PS9_PNS_15floating_traitsIS9_E6data_tEPKSG_,comdat
.Lfunc_end66:
	.size	_ZN9rocsparseL16kernel_calculateILi1024ELi8ELb0E21rocsparse_complex_numIdEiiEEvT4_T3_PKS4_S6_PKS3_PKT2_21rocsparse_index_base_S6_S6_S8_S6_S6_S8_S6_PS9_PNS_15floating_traitsIS9_E6data_tEPKSG_, .Lfunc_end66-_ZN9rocsparseL16kernel_calculateILi1024ELi8ELb0E21rocsparse_complex_numIdEiiEEvT4_T3_PKS4_S6_PKS3_PKT2_21rocsparse_index_base_S6_S6_S8_S6_S6_S8_S6_PS9_PNS_15floating_traitsIS9_E6data_tEPKSG_
                                        ; -- End function
	.section	.AMDGPU.csdata,"",@progbits
; Kernel info:
; codeLenInByte = 1976
; NumSgprs: 36
; NumVgprs: 38
; ScratchSize: 0
; MemoryBound: 1
; FloatMode: 240
; IeeeMode: 1
; LDSByteSize: 0 bytes/workgroup (compile time only)
; SGPRBlocks: 4
; VGPRBlocks: 4
; NumSGPRsForWavesPerEU: 36
; NumVGPRsForWavesPerEU: 38
; Occupancy: 16
; WaveLimiterHint : 1
; COMPUTE_PGM_RSRC2:SCRATCH_EN: 0
; COMPUTE_PGM_RSRC2:USER_SGPR: 15
; COMPUTE_PGM_RSRC2:TRAP_HANDLER: 0
; COMPUTE_PGM_RSRC2:TGID_X_EN: 1
; COMPUTE_PGM_RSRC2:TGID_Y_EN: 0
; COMPUTE_PGM_RSRC2:TGID_Z_EN: 0
; COMPUTE_PGM_RSRC2:TIDIG_COMP_CNT: 0
	.section	.text._ZN9rocsparseL16kernel_calculateILi1024ELi16ELb0E21rocsparse_complex_numIdEiiEEvT4_T3_PKS4_S6_PKS3_PKT2_21rocsparse_index_base_S6_S6_S8_S6_S6_S8_S6_PS9_PNS_15floating_traitsIS9_E6data_tEPKSG_,"axG",@progbits,_ZN9rocsparseL16kernel_calculateILi1024ELi16ELb0E21rocsparse_complex_numIdEiiEEvT4_T3_PKS4_S6_PKS3_PKT2_21rocsparse_index_base_S6_S6_S8_S6_S6_S8_S6_PS9_PNS_15floating_traitsIS9_E6data_tEPKSG_,comdat
	.globl	_ZN9rocsparseL16kernel_calculateILi1024ELi16ELb0E21rocsparse_complex_numIdEiiEEvT4_T3_PKS4_S6_PKS3_PKT2_21rocsparse_index_base_S6_S6_S8_S6_S6_S8_S6_PS9_PNS_15floating_traitsIS9_E6data_tEPKSG_ ; -- Begin function _ZN9rocsparseL16kernel_calculateILi1024ELi16ELb0E21rocsparse_complex_numIdEiiEEvT4_T3_PKS4_S6_PKS3_PKT2_21rocsparse_index_base_S6_S6_S8_S6_S6_S8_S6_PS9_PNS_15floating_traitsIS9_E6data_tEPKSG_
	.p2align	8
	.type	_ZN9rocsparseL16kernel_calculateILi1024ELi16ELb0E21rocsparse_complex_numIdEiiEEvT4_T3_PKS4_S6_PKS3_PKT2_21rocsparse_index_base_S6_S6_S8_S6_S6_S8_S6_PS9_PNS_15floating_traitsIS9_E6data_tEPKSG_,@function
_ZN9rocsparseL16kernel_calculateILi1024ELi16ELb0E21rocsparse_complex_numIdEiiEEvT4_T3_PKS4_S6_PKS3_PKT2_21rocsparse_index_base_S6_S6_S8_S6_S6_S8_S6_PS9_PNS_15floating_traitsIS9_E6data_tEPKSG_: ; @_ZN9rocsparseL16kernel_calculateILi1024ELi16ELb0E21rocsparse_complex_numIdEiiEEvT4_T3_PKS4_S6_PKS3_PKT2_21rocsparse_index_base_S6_S6_S8_S6_S6_S8_S6_PS9_PNS_15floating_traitsIS9_E6data_tEPKSG_
; %bb.0:
	s_load_b32 s2, s[0:1], 0x0
	v_lshrrev_b32_e32 v1, 4, v0
	s_mov_b32 s3, exec_lo
	s_delay_alu instid0(VALU_DEP_1) | instskip(SKIP_1) | instid1(VALU_DEP_1)
	v_lshl_or_b32 v23, s15, 10, v1
	s_waitcnt lgkmcnt(0)
	v_cmpx_gt_i32_e64 s2, v23
	s_cbranch_execz .LBB67_23
; %bb.1:
	s_clause 0x3
	s_load_b32 s3, s[0:1], 0x28
	s_load_b256 s[4:11], s[0:1], 0x50
	s_load_b256 s[12:19], s[0:1], 0x30
	;; [unrolled: 1-line block ×3, first 2 shown]
	v_and_b32_e32 v0, 15, v0
	s_mov_b32 s28, 0
	s_waitcnt lgkmcnt(0)
	s_delay_alu instid0(VALU_DEP_1)
	v_subrev_nc_u32_e32 v24, s3, v0
	s_branch .LBB67_3
.LBB67_2:                               ;   in Loop: Header=BB67_3 Depth=1
	s_or_b32 exec_lo, exec_lo, s29
	s_add_i32 s28, s28, 1
	s_delay_alu instid0(SALU_CYCLE_1)
	s_cmp_lg_u32 s28, 16
	s_cbranch_scc0 .LBB67_23
.LBB67_3:                               ; =>This Loop Header: Depth=1
                                        ;     Child Loop BB67_7 Depth 2
                                        ;       Child Loop BB67_10 Depth 3
	v_lshl_add_u32 v8, s28, 6, v23
	s_mov_b32 s29, exec_lo
	s_delay_alu instid0(VALU_DEP_1)
	v_cmpx_gt_i32_e64 s2, v8
	s_cbranch_execz .LBB67_2
; %bb.4:                                ;   in Loop: Header=BB67_3 Depth=1
	v_ashrrev_i32_e32 v9, 31, v8
	s_delay_alu instid0(VALU_DEP_1) | instskip(NEXT) | instid1(VALU_DEP_1)
	v_lshlrev_b64 v[0:1], 2, v[8:9]
	v_add_co_u32 v2, vcc_lo, s22, v0
	s_delay_alu instid0(VALU_DEP_2)
	v_add_co_ci_u32_e32 v3, vcc_lo, s23, v1, vcc_lo
	v_add_co_u32 v4, vcc_lo, s20, v0
	v_add_co_ci_u32_e32 v5, vcc_lo, s21, v1, vcc_lo
	global_load_b32 v2, v[2:3], off
	global_load_b32 v3, v[4:5], off
	s_waitcnt vmcnt(1)
	v_subrev_nc_u32_e32 v25, s3, v2
	s_waitcnt vmcnt(0)
	v_add_nc_u32_e32 v9, v24, v3
	s_delay_alu instid0(VALU_DEP_1)
	v_cmp_lt_i32_e32 vcc_lo, v9, v25
	s_and_b32 exec_lo, exec_lo, vcc_lo
	s_cbranch_execz .LBB67_2
; %bb.5:                                ;   in Loop: Header=BB67_3 Depth=1
	v_add_co_u32 v2, vcc_lo, s14, v0
	v_add_co_ci_u32_e32 v3, vcc_lo, s15, v1, vcc_lo
	v_add_co_u32 v0, vcc_lo, s12, v0
	v_add_co_ci_u32_e32 v1, vcc_lo, s13, v1, vcc_lo
	s_mov_b32 s30, 0
	global_load_b32 v2, v[2:3], off
	global_load_b32 v0, v[0:1], off
	s_waitcnt vmcnt(1)
	v_subrev_nc_u32_e32 v26, s3, v2
	s_waitcnt vmcnt(0)
	v_cmp_lt_i32_e64 s0, v0, v2
	v_subrev_nc_u32_e32 v27, s3, v0
	s_branch .LBB67_7
.LBB67_6:                               ;   in Loop: Header=BB67_7 Depth=2
	s_or_b32 exec_lo, exec_lo, s1
	v_add_nc_u32_e32 v9, 16, v9
	s_delay_alu instid0(VALU_DEP_1) | instskip(SKIP_1) | instid1(SALU_CYCLE_1)
	v_cmp_ge_i32_e32 vcc_lo, v9, v25
	s_or_b32 s30, vcc_lo, s30
	s_and_not1_b32 exec_lo, exec_lo, s30
	s_cbranch_execz .LBB67_2
.LBB67_7:                               ;   Parent Loop BB67_3 Depth=1
                                        ; =>  This Loop Header: Depth=2
                                        ;       Child Loop BB67_10 Depth 3
	v_ashrrev_i32_e32 v10, 31, v9
	s_delay_alu instid0(VALU_DEP_1) | instskip(SKIP_1) | instid1(VALU_DEP_2)
	v_lshlrev_b64 v[0:1], 2, v[9:10]
	v_lshlrev_b64 v[10:11], 4, v[9:10]
	v_add_co_u32 v0, vcc_lo, s24, v0
	s_delay_alu instid0(VALU_DEP_3) | instskip(SKIP_3) | instid1(VALU_DEP_1)
	v_add_co_ci_u32_e32 v1, vcc_lo, s25, v1, vcc_lo
	global_load_b32 v0, v[0:1], off
	s_waitcnt vmcnt(0)
	v_subrev_nc_u32_e32 v12, s3, v0
	v_ashrrev_i32_e32 v13, 31, v12
	s_delay_alu instid0(VALU_DEP_1) | instskip(SKIP_2) | instid1(VALU_DEP_3)
	v_lshlrev_b64 v[0:1], 2, v[12:13]
	v_mov_b32_e32 v13, 0
	v_mov_b32_e32 v14, 0
	v_add_co_u32 v2, vcc_lo, s14, v0
	s_delay_alu instid0(VALU_DEP_4)
	v_add_co_ci_u32_e32 v3, vcc_lo, s15, v1, vcc_lo
	v_add_co_u32 v4, vcc_lo, s4, v0
	v_add_co_ci_u32_e32 v5, vcc_lo, s5, v1, vcc_lo
	global_load_b32 v2, v[2:3], off
	v_add_co_u32 v0, vcc_lo, s18, v0
	v_add_co_ci_u32_e32 v1, vcc_lo, s19, v1, vcc_lo
	v_add_co_u32 v6, vcc_lo, s26, v10
	v_add_co_ci_u32_e32 v7, vcc_lo, s27, v11, vcc_lo
	global_load_b32 v17, v[4:5], off
	global_load_b32 v18, v[0:1], off
	v_dual_mov_b32 v16, v14 :: v_dual_mov_b32 v15, v13
	s_waitcnt vmcnt(2)
	v_subrev_nc_u32_e32 v2, s3, v2
	s_delay_alu instid0(VALU_DEP_1) | instskip(NEXT) | instid1(VALU_DEP_1)
	v_ashrrev_i32_e32 v3, 31, v2
	v_lshlrev_b64 v[2:3], 4, v[2:3]
	s_delay_alu instid0(VALU_DEP_1) | instskip(NEXT) | instid1(VALU_DEP_2)
	v_add_co_u32 v4, vcc_lo, s10, v2
	v_add_co_ci_u32_e32 v5, vcc_lo, s11, v3, vcc_lo
	s_waitcnt vmcnt(0)
	v_cmp_lt_i32_e32 vcc_lo, v18, v17
	global_load_b128 v[0:3], v[6:7], off
	global_load_b128 v[4:7], v[4:5], off
	s_and_b32 s1, s0, vcc_lo
	s_delay_alu instid0(SALU_CYCLE_1)
	s_and_saveexec_b32 s31, s1
	s_cbranch_execz .LBB67_13
; %bb.8:                                ;   in Loop: Header=BB67_7 Depth=2
	v_mov_b32_e32 v13, 0
	v_dual_mov_b32 v14, 0 :: v_dual_mov_b32 v19, v27
	v_subrev_nc_u32_e32 v28, s3, v17
	v_subrev_nc_u32_e32 v17, s3, v18
	s_mov_b32 s33, 0
	s_delay_alu instid0(VALU_DEP_3)
	v_dual_mov_b32 v16, v14 :: v_dual_mov_b32 v15, v13
	s_branch .LBB67_10
.LBB67_9:                               ;   in Loop: Header=BB67_10 Depth=3
	s_or_b32 exec_lo, exec_lo, s1
	v_cmp_le_i32_e32 vcc_lo, v18, v29
	v_add_co_ci_u32_e32 v19, vcc_lo, 0, v19, vcc_lo
	v_cmp_ge_i32_e32 vcc_lo, v18, v29
	v_add_co_ci_u32_e32 v17, vcc_lo, 0, v17, vcc_lo
	s_delay_alu instid0(VALU_DEP_3) | instskip(NEXT) | instid1(VALU_DEP_2)
	v_cmp_ge_i32_e32 vcc_lo, v19, v26
	v_cmp_ge_i32_e64 s1, v17, v28
	s_delay_alu instid0(VALU_DEP_1) | instskip(NEXT) | instid1(SALU_CYCLE_1)
	s_or_b32 s1, vcc_lo, s1
	s_and_b32 s1, exec_lo, s1
	s_delay_alu instid0(SALU_CYCLE_1) | instskip(NEXT) | instid1(SALU_CYCLE_1)
	s_or_b32 s33, s1, s33
	s_and_not1_b32 exec_lo, exec_lo, s33
	s_cbranch_execz .LBB67_12
.LBB67_10:                              ;   Parent Loop BB67_3 Depth=1
                                        ;     Parent Loop BB67_7 Depth=2
                                        ; =>    This Inner Loop Header: Depth=3
	v_ashrrev_i32_e32 v20, 31, v19
	v_ashrrev_i32_e32 v18, 31, v17
	s_mov_b32 s1, exec_lo
	s_delay_alu instid0(VALU_DEP_2) | instskip(NEXT) | instid1(VALU_DEP_2)
	v_lshlrev_b64 v[29:30], 2, v[19:20]
	v_lshlrev_b64 v[21:22], 2, v[17:18]
	s_delay_alu instid0(VALU_DEP_2) | instskip(NEXT) | instid1(VALU_DEP_3)
	v_add_co_u32 v29, vcc_lo, s16, v29
	v_add_co_ci_u32_e32 v30, vcc_lo, s17, v30, vcc_lo
	s_delay_alu instid0(VALU_DEP_3) | instskip(NEXT) | instid1(VALU_DEP_4)
	v_add_co_u32 v31, vcc_lo, s6, v21
	v_add_co_ci_u32_e32 v32, vcc_lo, s7, v22, vcc_lo
	global_load_b32 v18, v[29:30], off
	global_load_b32 v29, v[31:32], off
	s_waitcnt vmcnt(0)
	v_cmpx_eq_u32_e64 v18, v29
	s_cbranch_execz .LBB67_9
; %bb.11:                               ;   in Loop: Header=BB67_10 Depth=3
	v_add_co_u32 v21, vcc_lo, s8, v21
	v_add_co_ci_u32_e32 v22, vcc_lo, s9, v22, vcc_lo
	v_lshlrev_b64 v[30:31], 4, v[19:20]
	global_load_b32 v21, v[21:22], off
	v_add_co_u32 v30, vcc_lo, s10, v30
	v_add_co_ci_u32_e32 v31, vcc_lo, s11, v31, vcc_lo
	s_waitcnt vmcnt(0)
	v_ashrrev_i32_e32 v22, 31, v21
	s_delay_alu instid0(VALU_DEP_1) | instskip(NEXT) | instid1(VALU_DEP_1)
	v_lshlrev_b64 v[20:21], 4, v[21:22]
	v_add_co_u32 v20, vcc_lo, s10, v20
	s_delay_alu instid0(VALU_DEP_2)
	v_add_co_ci_u32_e32 v21, vcc_lo, s11, v21, vcc_lo
	s_clause 0x1
	global_load_b128 v[30:33], v[30:31], off
	global_load_b128 v[34:37], v[20:21], off
	s_waitcnt vmcnt(0)
	v_fma_f64 v[13:14], v[30:31], v[34:35], v[13:14]
	v_fma_f64 v[15:16], v[32:33], v[34:35], v[15:16]
	s_delay_alu instid0(VALU_DEP_2) | instskip(NEXT) | instid1(VALU_DEP_2)
	v_fma_f64 v[13:14], -v[32:33], v[36:37], v[13:14]
	v_fma_f64 v[15:16], v[30:31], v[36:37], v[15:16]
	s_branch .LBB67_9
.LBB67_12:                              ;   in Loop: Header=BB67_7 Depth=2
	s_or_b32 exec_lo, exec_lo, s33
.LBB67_13:                              ;   in Loop: Header=BB67_7 Depth=2
	s_delay_alu instid0(SALU_CYCLE_1)
	s_or_b32 exec_lo, exec_lo, s31
	s_waitcnt vmcnt(1)
	v_add_f64 v[0:1], v[0:1], -v[13:14]
	v_add_f64 v[2:3], v[2:3], -v[15:16]
	s_mov_b32 s1, exec_lo
	v_cmpx_gt_i32_e64 v8, v12
	s_cbranch_execz .LBB67_15
; %bb.14:                               ;   in Loop: Header=BB67_7 Depth=2
	s_waitcnt vmcnt(0)
	v_mul_f64 v[12:13], v[6:7], v[6:7]
	s_delay_alu instid0(VALU_DEP_1) | instskip(NEXT) | instid1(VALU_DEP_1)
	v_fma_f64 v[12:13], v[4:5], v[4:5], v[12:13]
	v_div_scale_f64 v[14:15], null, v[12:13], v[12:13], 1.0
	v_div_scale_f64 v[20:21], vcc_lo, 1.0, v[12:13], 1.0
	s_delay_alu instid0(VALU_DEP_2) | instskip(SKIP_2) | instid1(VALU_DEP_1)
	v_rcp_f64_e32 v[16:17], v[14:15]
	s_waitcnt_depctr 0xfff
	v_fma_f64 v[18:19], -v[14:15], v[16:17], 1.0
	v_fma_f64 v[16:17], v[16:17], v[18:19], v[16:17]
	s_delay_alu instid0(VALU_DEP_1) | instskip(NEXT) | instid1(VALU_DEP_1)
	v_fma_f64 v[18:19], -v[14:15], v[16:17], 1.0
	v_fma_f64 v[16:17], v[16:17], v[18:19], v[16:17]
	s_delay_alu instid0(VALU_DEP_1) | instskip(NEXT) | instid1(VALU_DEP_1)
	v_mul_f64 v[18:19], v[20:21], v[16:17]
	v_fma_f64 v[14:15], -v[14:15], v[18:19], v[20:21]
	s_delay_alu instid0(VALU_DEP_1) | instskip(SKIP_2) | instid1(VALU_DEP_3)
	v_div_fmas_f64 v[14:15], v[14:15], v[16:17], v[18:19]
	v_mul_f64 v[16:17], v[6:7], v[2:3]
	v_mul_f64 v[6:7], v[6:7], -v[0:1]
	v_div_fixup_f64 v[12:13], v[14:15], v[12:13], 1.0
	s_delay_alu instid0(VALU_DEP_3) | instskip(NEXT) | instid1(VALU_DEP_3)
	v_fma_f64 v[0:1], v[0:1], v[4:5], v[16:17]
	v_fma_f64 v[2:3], v[2:3], v[4:5], v[6:7]
	s_delay_alu instid0(VALU_DEP_2) | instskip(NEXT) | instid1(VALU_DEP_2)
	v_mul_f64 v[0:1], v[12:13], v[0:1]
	v_mul_f64 v[2:3], v[12:13], v[2:3]
.LBB67_15:                              ;   in Loop: Header=BB67_7 Depth=2
	s_or_b32 exec_lo, exec_lo, s1
	s_delay_alu instid0(VALU_DEP_2) | instskip(NEXT) | instid1(VALU_DEP_2)
	v_cmp_gt_f64_e32 vcc_lo, 0, v[0:1]
	v_cmp_gt_f64_e64 s1, 0, v[2:3]
	s_waitcnt vmcnt(0)
	v_xor_b32_e32 v4, 0x80000000, v1
	v_xor_b32_e32 v6, 0x80000000, v3
                                        ; implicit-def: $vgpr12_vgpr13
	s_delay_alu instid0(VALU_DEP_2) | instskip(NEXT) | instid1(VALU_DEP_2)
	v_cndmask_b32_e32 v5, v1, v4, vcc_lo
	v_cndmask_b32_e64 v7, v3, v6, s1
	v_cndmask_b32_e32 v4, v0, v0, vcc_lo
	v_cndmask_b32_e64 v6, v2, v2, s1
	s_mov_b32 s1, exec_lo
	s_delay_alu instid0(VALU_DEP_1)
	v_cmpx_ngt_f64_e32 v[4:5], v[6:7]
	s_xor_b32 s1, exec_lo, s1
	s_cbranch_execnz .LBB67_18
; %bb.16:                               ;   in Loop: Header=BB67_7 Depth=2
	s_and_not1_saveexec_b32 s1, s1
	s_cbranch_execnz .LBB67_21
.LBB67_17:                              ;   in Loop: Header=BB67_7 Depth=2
	s_or_b32 exec_lo, exec_lo, s1
	s_delay_alu instid0(VALU_DEP_1) | instskip(NEXT) | instid1(VALU_DEP_1)
	v_cmp_class_f64_e64 s31, v[12:13], 0x1f8
	s_and_saveexec_b32 s1, s31
	s_cbranch_execz .LBB67_6
	s_branch .LBB67_22
.LBB67_18:                              ;   in Loop: Header=BB67_7 Depth=2
	v_mov_b32_e32 v12, 0
	v_mov_b32_e32 v13, 0
	s_mov_b32 s31, exec_lo
	v_cmpx_neq_f64_e32 0, v[2:3]
	s_cbranch_execz .LBB67_20
; %bb.19:                               ;   in Loop: Header=BB67_7 Depth=2
	v_div_scale_f64 v[12:13], null, v[6:7], v[6:7], v[4:5]
	v_div_scale_f64 v[18:19], vcc_lo, v[4:5], v[6:7], v[4:5]
	s_delay_alu instid0(VALU_DEP_2) | instskip(SKIP_2) | instid1(VALU_DEP_1)
	v_rcp_f64_e32 v[14:15], v[12:13]
	s_waitcnt_depctr 0xfff
	v_fma_f64 v[16:17], -v[12:13], v[14:15], 1.0
	v_fma_f64 v[14:15], v[14:15], v[16:17], v[14:15]
	s_delay_alu instid0(VALU_DEP_1) | instskip(NEXT) | instid1(VALU_DEP_1)
	v_fma_f64 v[16:17], -v[12:13], v[14:15], 1.0
	v_fma_f64 v[14:15], v[14:15], v[16:17], v[14:15]
	s_delay_alu instid0(VALU_DEP_1) | instskip(NEXT) | instid1(VALU_DEP_1)
	v_mul_f64 v[16:17], v[18:19], v[14:15]
	v_fma_f64 v[12:13], -v[12:13], v[16:17], v[18:19]
	s_delay_alu instid0(VALU_DEP_1) | instskip(NEXT) | instid1(VALU_DEP_1)
	v_div_fmas_f64 v[12:13], v[12:13], v[14:15], v[16:17]
	v_div_fixup_f64 v[4:5], v[12:13], v[6:7], v[4:5]
	s_delay_alu instid0(VALU_DEP_1) | instskip(NEXT) | instid1(VALU_DEP_1)
	v_fma_f64 v[4:5], v[4:5], v[4:5], 1.0
	v_cmp_gt_f64_e32 vcc_lo, 0x10000000, v[4:5]
	v_cndmask_b32_e64 v12, 0, 1, vcc_lo
	s_delay_alu instid0(VALU_DEP_1) | instskip(NEXT) | instid1(VALU_DEP_1)
	v_lshlrev_b32_e32 v12, 8, v12
	v_ldexp_f64 v[4:5], v[4:5], v12
	s_delay_alu instid0(VALU_DEP_1) | instskip(SKIP_3) | instid1(VALU_DEP_1)
	v_rsq_f64_e32 v[12:13], v[4:5]
	s_waitcnt_depctr 0xfff
	v_mul_f64 v[14:15], v[4:5], v[12:13]
	v_mul_f64 v[12:13], v[12:13], 0.5
	v_fma_f64 v[16:17], -v[12:13], v[14:15], 0.5
	s_delay_alu instid0(VALU_DEP_1) | instskip(SKIP_1) | instid1(VALU_DEP_2)
	v_fma_f64 v[14:15], v[14:15], v[16:17], v[14:15]
	v_fma_f64 v[12:13], v[12:13], v[16:17], v[12:13]
	v_fma_f64 v[16:17], -v[14:15], v[14:15], v[4:5]
	s_delay_alu instid0(VALU_DEP_1) | instskip(NEXT) | instid1(VALU_DEP_1)
	v_fma_f64 v[14:15], v[16:17], v[12:13], v[14:15]
	v_fma_f64 v[16:17], -v[14:15], v[14:15], v[4:5]
	s_delay_alu instid0(VALU_DEP_1) | instskip(SKIP_2) | instid1(VALU_DEP_2)
	v_fma_f64 v[12:13], v[16:17], v[12:13], v[14:15]
	v_cndmask_b32_e64 v14, 0, 0xffffff80, vcc_lo
	v_cmp_class_f64_e64 vcc_lo, v[4:5], 0x260
	v_ldexp_f64 v[12:13], v[12:13], v14
	s_delay_alu instid0(VALU_DEP_1) | instskip(NEXT) | instid1(VALU_DEP_1)
	v_dual_cndmask_b32 v5, v13, v5 :: v_dual_cndmask_b32 v4, v12, v4
	v_mul_f64 v[12:13], v[6:7], v[4:5]
.LBB67_20:                              ;   in Loop: Header=BB67_7 Depth=2
	s_or_b32 exec_lo, exec_lo, s31
                                        ; implicit-def: $vgpr4_vgpr5
                                        ; implicit-def: $vgpr6_vgpr7
	s_and_not1_saveexec_b32 s1, s1
	s_cbranch_execz .LBB67_17
.LBB67_21:                              ;   in Loop: Header=BB67_7 Depth=2
	v_div_scale_f64 v[12:13], null, v[4:5], v[4:5], v[6:7]
	v_div_scale_f64 v[18:19], vcc_lo, v[6:7], v[4:5], v[6:7]
	s_delay_alu instid0(VALU_DEP_2) | instskip(SKIP_2) | instid1(VALU_DEP_1)
	v_rcp_f64_e32 v[14:15], v[12:13]
	s_waitcnt_depctr 0xfff
	v_fma_f64 v[16:17], -v[12:13], v[14:15], 1.0
	v_fma_f64 v[14:15], v[14:15], v[16:17], v[14:15]
	s_delay_alu instid0(VALU_DEP_1) | instskip(NEXT) | instid1(VALU_DEP_1)
	v_fma_f64 v[16:17], -v[12:13], v[14:15], 1.0
	v_fma_f64 v[14:15], v[14:15], v[16:17], v[14:15]
	s_delay_alu instid0(VALU_DEP_1) | instskip(NEXT) | instid1(VALU_DEP_1)
	v_mul_f64 v[16:17], v[18:19], v[14:15]
	v_fma_f64 v[12:13], -v[12:13], v[16:17], v[18:19]
	s_delay_alu instid0(VALU_DEP_1) | instskip(NEXT) | instid1(VALU_DEP_1)
	v_div_fmas_f64 v[12:13], v[12:13], v[14:15], v[16:17]
	v_div_fixup_f64 v[6:7], v[12:13], v[4:5], v[6:7]
	s_delay_alu instid0(VALU_DEP_1) | instskip(NEXT) | instid1(VALU_DEP_1)
	v_fma_f64 v[6:7], v[6:7], v[6:7], 1.0
	v_cmp_gt_f64_e32 vcc_lo, 0x10000000, v[6:7]
	v_cndmask_b32_e64 v12, 0, 1, vcc_lo
	s_delay_alu instid0(VALU_DEP_1) | instskip(NEXT) | instid1(VALU_DEP_1)
	v_lshlrev_b32_e32 v12, 8, v12
	v_ldexp_f64 v[6:7], v[6:7], v12
	s_delay_alu instid0(VALU_DEP_1) | instskip(SKIP_3) | instid1(VALU_DEP_1)
	v_rsq_f64_e32 v[12:13], v[6:7]
	s_waitcnt_depctr 0xfff
	v_mul_f64 v[14:15], v[6:7], v[12:13]
	v_mul_f64 v[12:13], v[12:13], 0.5
	v_fma_f64 v[16:17], -v[12:13], v[14:15], 0.5
	s_delay_alu instid0(VALU_DEP_1) | instskip(SKIP_1) | instid1(VALU_DEP_2)
	v_fma_f64 v[14:15], v[14:15], v[16:17], v[14:15]
	v_fma_f64 v[12:13], v[12:13], v[16:17], v[12:13]
	v_fma_f64 v[16:17], -v[14:15], v[14:15], v[6:7]
	s_delay_alu instid0(VALU_DEP_1) | instskip(NEXT) | instid1(VALU_DEP_1)
	v_fma_f64 v[14:15], v[16:17], v[12:13], v[14:15]
	v_fma_f64 v[16:17], -v[14:15], v[14:15], v[6:7]
	s_delay_alu instid0(VALU_DEP_1) | instskip(SKIP_2) | instid1(VALU_DEP_2)
	v_fma_f64 v[12:13], v[16:17], v[12:13], v[14:15]
	v_cndmask_b32_e64 v14, 0, 0xffffff80, vcc_lo
	v_cmp_class_f64_e64 vcc_lo, v[6:7], 0x260
	v_ldexp_f64 v[12:13], v[12:13], v14
	s_delay_alu instid0(VALU_DEP_1) | instskip(NEXT) | instid1(VALU_DEP_1)
	v_dual_cndmask_b32 v7, v13, v7 :: v_dual_cndmask_b32 v6, v12, v6
	v_mul_f64 v[12:13], v[4:5], v[6:7]
	s_or_b32 exec_lo, exec_lo, s1
	s_delay_alu instid0(VALU_DEP_1) | instskip(NEXT) | instid1(VALU_DEP_1)
	v_cmp_class_f64_e64 s31, v[12:13], 0x1f8
	s_and_saveexec_b32 s1, s31
	s_cbranch_execz .LBB67_6
.LBB67_22:                              ;   in Loop: Header=BB67_7 Depth=2
	v_add_co_u32 v4, vcc_lo, s10, v10
	v_add_co_ci_u32_e32 v5, vcc_lo, s11, v11, vcc_lo
	global_store_b128 v[4:5], v[0:3], off
	s_branch .LBB67_6
.LBB67_23:
	s_nop 0
	s_sendmsg sendmsg(MSG_DEALLOC_VGPRS)
	s_endpgm
	.section	.rodata,"a",@progbits
	.p2align	6, 0x0
	.amdhsa_kernel _ZN9rocsparseL16kernel_calculateILi1024ELi16ELb0E21rocsparse_complex_numIdEiiEEvT4_T3_PKS4_S6_PKS3_PKT2_21rocsparse_index_base_S6_S6_S8_S6_S6_S8_S6_PS9_PNS_15floating_traitsIS9_E6data_tEPKSG_
		.amdhsa_group_segment_fixed_size 0
		.amdhsa_private_segment_fixed_size 0
		.amdhsa_kernarg_size 128
		.amdhsa_user_sgpr_count 15
		.amdhsa_user_sgpr_dispatch_ptr 0
		.amdhsa_user_sgpr_queue_ptr 0
		.amdhsa_user_sgpr_kernarg_segment_ptr 1
		.amdhsa_user_sgpr_dispatch_id 0
		.amdhsa_user_sgpr_private_segment_size 0
		.amdhsa_wavefront_size32 1
		.amdhsa_uses_dynamic_stack 0
		.amdhsa_enable_private_segment 0
		.amdhsa_system_sgpr_workgroup_id_x 1
		.amdhsa_system_sgpr_workgroup_id_y 0
		.amdhsa_system_sgpr_workgroup_id_z 0
		.amdhsa_system_sgpr_workgroup_info 0
		.amdhsa_system_vgpr_workitem_id 0
		.amdhsa_next_free_vgpr 38
		.amdhsa_next_free_sgpr 34
		.amdhsa_reserve_vcc 1
		.amdhsa_float_round_mode_32 0
		.amdhsa_float_round_mode_16_64 0
		.amdhsa_float_denorm_mode_32 3
		.amdhsa_float_denorm_mode_16_64 3
		.amdhsa_dx10_clamp 1
		.amdhsa_ieee_mode 1
		.amdhsa_fp16_overflow 0
		.amdhsa_workgroup_processor_mode 1
		.amdhsa_memory_ordered 1
		.amdhsa_forward_progress 0
		.amdhsa_shared_vgpr_count 0
		.amdhsa_exception_fp_ieee_invalid_op 0
		.amdhsa_exception_fp_denorm_src 0
		.amdhsa_exception_fp_ieee_div_zero 0
		.amdhsa_exception_fp_ieee_overflow 0
		.amdhsa_exception_fp_ieee_underflow 0
		.amdhsa_exception_fp_ieee_inexact 0
		.amdhsa_exception_int_div_zero 0
	.end_amdhsa_kernel
	.section	.text._ZN9rocsparseL16kernel_calculateILi1024ELi16ELb0E21rocsparse_complex_numIdEiiEEvT4_T3_PKS4_S6_PKS3_PKT2_21rocsparse_index_base_S6_S6_S8_S6_S6_S8_S6_PS9_PNS_15floating_traitsIS9_E6data_tEPKSG_,"axG",@progbits,_ZN9rocsparseL16kernel_calculateILi1024ELi16ELb0E21rocsparse_complex_numIdEiiEEvT4_T3_PKS4_S6_PKS3_PKT2_21rocsparse_index_base_S6_S6_S8_S6_S6_S8_S6_PS9_PNS_15floating_traitsIS9_E6data_tEPKSG_,comdat
.Lfunc_end67:
	.size	_ZN9rocsparseL16kernel_calculateILi1024ELi16ELb0E21rocsparse_complex_numIdEiiEEvT4_T3_PKS4_S6_PKS3_PKT2_21rocsparse_index_base_S6_S6_S8_S6_S6_S8_S6_PS9_PNS_15floating_traitsIS9_E6data_tEPKSG_, .Lfunc_end67-_ZN9rocsparseL16kernel_calculateILi1024ELi16ELb0E21rocsparse_complex_numIdEiiEEvT4_T3_PKS4_S6_PKS3_PKT2_21rocsparse_index_base_S6_S6_S8_S6_S6_S8_S6_PS9_PNS_15floating_traitsIS9_E6data_tEPKSG_
                                        ; -- End function
	.section	.AMDGPU.csdata,"",@progbits
; Kernel info:
; codeLenInByte = 1976
; NumSgprs: 36
; NumVgprs: 38
; ScratchSize: 0
; MemoryBound: 1
; FloatMode: 240
; IeeeMode: 1
; LDSByteSize: 0 bytes/workgroup (compile time only)
; SGPRBlocks: 4
; VGPRBlocks: 4
; NumSGPRsForWavesPerEU: 36
; NumVGPRsForWavesPerEU: 38
; Occupancy: 16
; WaveLimiterHint : 1
; COMPUTE_PGM_RSRC2:SCRATCH_EN: 0
; COMPUTE_PGM_RSRC2:USER_SGPR: 15
; COMPUTE_PGM_RSRC2:TRAP_HANDLER: 0
; COMPUTE_PGM_RSRC2:TGID_X_EN: 1
; COMPUTE_PGM_RSRC2:TGID_Y_EN: 0
; COMPUTE_PGM_RSRC2:TGID_Z_EN: 0
; COMPUTE_PGM_RSRC2:TIDIG_COMP_CNT: 0
	.section	.text._ZN9rocsparseL16kernel_calculateILi1024ELi32ELb0E21rocsparse_complex_numIdEiiEEvT4_T3_PKS4_S6_PKS3_PKT2_21rocsparse_index_base_S6_S6_S8_S6_S6_S8_S6_PS9_PNS_15floating_traitsIS9_E6data_tEPKSG_,"axG",@progbits,_ZN9rocsparseL16kernel_calculateILi1024ELi32ELb0E21rocsparse_complex_numIdEiiEEvT4_T3_PKS4_S6_PKS3_PKT2_21rocsparse_index_base_S6_S6_S8_S6_S6_S8_S6_PS9_PNS_15floating_traitsIS9_E6data_tEPKSG_,comdat
	.globl	_ZN9rocsparseL16kernel_calculateILi1024ELi32ELb0E21rocsparse_complex_numIdEiiEEvT4_T3_PKS4_S6_PKS3_PKT2_21rocsparse_index_base_S6_S6_S8_S6_S6_S8_S6_PS9_PNS_15floating_traitsIS9_E6data_tEPKSG_ ; -- Begin function _ZN9rocsparseL16kernel_calculateILi1024ELi32ELb0E21rocsparse_complex_numIdEiiEEvT4_T3_PKS4_S6_PKS3_PKT2_21rocsparse_index_base_S6_S6_S8_S6_S6_S8_S6_PS9_PNS_15floating_traitsIS9_E6data_tEPKSG_
	.p2align	8
	.type	_ZN9rocsparseL16kernel_calculateILi1024ELi32ELb0E21rocsparse_complex_numIdEiiEEvT4_T3_PKS4_S6_PKS3_PKT2_21rocsparse_index_base_S6_S6_S8_S6_S6_S8_S6_PS9_PNS_15floating_traitsIS9_E6data_tEPKSG_,@function
_ZN9rocsparseL16kernel_calculateILi1024ELi32ELb0E21rocsparse_complex_numIdEiiEEvT4_T3_PKS4_S6_PKS3_PKT2_21rocsparse_index_base_S6_S6_S8_S6_S6_S8_S6_PS9_PNS_15floating_traitsIS9_E6data_tEPKSG_: ; @_ZN9rocsparseL16kernel_calculateILi1024ELi32ELb0E21rocsparse_complex_numIdEiiEEvT4_T3_PKS4_S6_PKS3_PKT2_21rocsparse_index_base_S6_S6_S8_S6_S6_S8_S6_PS9_PNS_15floating_traitsIS9_E6data_tEPKSG_
; %bb.0:
	s_load_b32 s2, s[0:1], 0x0
	v_lshrrev_b32_e32 v1, 5, v0
	s_mov_b32 s3, exec_lo
	s_delay_alu instid0(VALU_DEP_1) | instskip(SKIP_1) | instid1(VALU_DEP_1)
	v_lshl_or_b32 v23, s15, 10, v1
	s_waitcnt lgkmcnt(0)
	v_cmpx_gt_i32_e64 s2, v23
	s_cbranch_execz .LBB68_23
; %bb.1:
	s_clause 0x3
	s_load_b32 s3, s[0:1], 0x28
	s_load_b256 s[4:11], s[0:1], 0x50
	s_load_b256 s[12:19], s[0:1], 0x30
	;; [unrolled: 1-line block ×3, first 2 shown]
	v_and_b32_e32 v0, 31, v0
	s_mov_b32 s28, 0
	s_waitcnt lgkmcnt(0)
	s_delay_alu instid0(VALU_DEP_1)
	v_subrev_nc_u32_e32 v24, s3, v0
	s_branch .LBB68_3
.LBB68_2:                               ;   in Loop: Header=BB68_3 Depth=1
	s_or_b32 exec_lo, exec_lo, s29
	s_add_i32 s28, s28, 1
	s_delay_alu instid0(SALU_CYCLE_1)
	s_cmp_lg_u32 s28, 32
	s_cbranch_scc0 .LBB68_23
.LBB68_3:                               ; =>This Loop Header: Depth=1
                                        ;     Child Loop BB68_7 Depth 2
                                        ;       Child Loop BB68_10 Depth 3
	v_lshl_add_u32 v8, s28, 5, v23
	s_mov_b32 s29, exec_lo
	s_delay_alu instid0(VALU_DEP_1)
	v_cmpx_gt_i32_e64 s2, v8
	s_cbranch_execz .LBB68_2
; %bb.4:                                ;   in Loop: Header=BB68_3 Depth=1
	v_ashrrev_i32_e32 v9, 31, v8
	s_delay_alu instid0(VALU_DEP_1) | instskip(NEXT) | instid1(VALU_DEP_1)
	v_lshlrev_b64 v[0:1], 2, v[8:9]
	v_add_co_u32 v2, vcc_lo, s22, v0
	s_delay_alu instid0(VALU_DEP_2)
	v_add_co_ci_u32_e32 v3, vcc_lo, s23, v1, vcc_lo
	v_add_co_u32 v4, vcc_lo, s20, v0
	v_add_co_ci_u32_e32 v5, vcc_lo, s21, v1, vcc_lo
	global_load_b32 v2, v[2:3], off
	global_load_b32 v3, v[4:5], off
	s_waitcnt vmcnt(1)
	v_subrev_nc_u32_e32 v25, s3, v2
	s_waitcnt vmcnt(0)
	v_add_nc_u32_e32 v9, v24, v3
	s_delay_alu instid0(VALU_DEP_1)
	v_cmp_lt_i32_e32 vcc_lo, v9, v25
	s_and_b32 exec_lo, exec_lo, vcc_lo
	s_cbranch_execz .LBB68_2
; %bb.5:                                ;   in Loop: Header=BB68_3 Depth=1
	v_add_co_u32 v2, vcc_lo, s14, v0
	v_add_co_ci_u32_e32 v3, vcc_lo, s15, v1, vcc_lo
	v_add_co_u32 v0, vcc_lo, s12, v0
	v_add_co_ci_u32_e32 v1, vcc_lo, s13, v1, vcc_lo
	s_mov_b32 s30, 0
	global_load_b32 v2, v[2:3], off
	global_load_b32 v0, v[0:1], off
	s_waitcnt vmcnt(1)
	v_subrev_nc_u32_e32 v26, s3, v2
	s_waitcnt vmcnt(0)
	v_cmp_lt_i32_e64 s0, v0, v2
	v_subrev_nc_u32_e32 v27, s3, v0
	s_branch .LBB68_7
.LBB68_6:                               ;   in Loop: Header=BB68_7 Depth=2
	s_or_b32 exec_lo, exec_lo, s1
	v_add_nc_u32_e32 v9, 32, v9
	s_delay_alu instid0(VALU_DEP_1) | instskip(SKIP_1) | instid1(SALU_CYCLE_1)
	v_cmp_ge_i32_e32 vcc_lo, v9, v25
	s_or_b32 s30, vcc_lo, s30
	s_and_not1_b32 exec_lo, exec_lo, s30
	s_cbranch_execz .LBB68_2
.LBB68_7:                               ;   Parent Loop BB68_3 Depth=1
                                        ; =>  This Loop Header: Depth=2
                                        ;       Child Loop BB68_10 Depth 3
	v_ashrrev_i32_e32 v10, 31, v9
	s_delay_alu instid0(VALU_DEP_1) | instskip(SKIP_1) | instid1(VALU_DEP_2)
	v_lshlrev_b64 v[0:1], 2, v[9:10]
	v_lshlrev_b64 v[10:11], 4, v[9:10]
	v_add_co_u32 v0, vcc_lo, s24, v0
	s_delay_alu instid0(VALU_DEP_3) | instskip(SKIP_3) | instid1(VALU_DEP_1)
	v_add_co_ci_u32_e32 v1, vcc_lo, s25, v1, vcc_lo
	global_load_b32 v0, v[0:1], off
	s_waitcnt vmcnt(0)
	v_subrev_nc_u32_e32 v12, s3, v0
	v_ashrrev_i32_e32 v13, 31, v12
	s_delay_alu instid0(VALU_DEP_1) | instskip(SKIP_2) | instid1(VALU_DEP_3)
	v_lshlrev_b64 v[0:1], 2, v[12:13]
	v_mov_b32_e32 v13, 0
	v_mov_b32_e32 v14, 0
	v_add_co_u32 v2, vcc_lo, s14, v0
	s_delay_alu instid0(VALU_DEP_4)
	v_add_co_ci_u32_e32 v3, vcc_lo, s15, v1, vcc_lo
	v_add_co_u32 v4, vcc_lo, s4, v0
	v_add_co_ci_u32_e32 v5, vcc_lo, s5, v1, vcc_lo
	global_load_b32 v2, v[2:3], off
	v_add_co_u32 v0, vcc_lo, s18, v0
	v_add_co_ci_u32_e32 v1, vcc_lo, s19, v1, vcc_lo
	v_add_co_u32 v6, vcc_lo, s26, v10
	v_add_co_ci_u32_e32 v7, vcc_lo, s27, v11, vcc_lo
	global_load_b32 v17, v[4:5], off
	global_load_b32 v18, v[0:1], off
	v_dual_mov_b32 v16, v14 :: v_dual_mov_b32 v15, v13
	s_waitcnt vmcnt(2)
	v_subrev_nc_u32_e32 v2, s3, v2
	s_delay_alu instid0(VALU_DEP_1) | instskip(NEXT) | instid1(VALU_DEP_1)
	v_ashrrev_i32_e32 v3, 31, v2
	v_lshlrev_b64 v[2:3], 4, v[2:3]
	s_delay_alu instid0(VALU_DEP_1) | instskip(NEXT) | instid1(VALU_DEP_2)
	v_add_co_u32 v4, vcc_lo, s10, v2
	v_add_co_ci_u32_e32 v5, vcc_lo, s11, v3, vcc_lo
	s_waitcnt vmcnt(0)
	v_cmp_lt_i32_e32 vcc_lo, v18, v17
	global_load_b128 v[0:3], v[6:7], off
	global_load_b128 v[4:7], v[4:5], off
	s_and_b32 s1, s0, vcc_lo
	s_delay_alu instid0(SALU_CYCLE_1)
	s_and_saveexec_b32 s31, s1
	s_cbranch_execz .LBB68_13
; %bb.8:                                ;   in Loop: Header=BB68_7 Depth=2
	v_mov_b32_e32 v13, 0
	v_dual_mov_b32 v14, 0 :: v_dual_mov_b32 v19, v27
	v_subrev_nc_u32_e32 v28, s3, v17
	v_subrev_nc_u32_e32 v17, s3, v18
	s_mov_b32 s33, 0
	s_delay_alu instid0(VALU_DEP_3)
	v_dual_mov_b32 v16, v14 :: v_dual_mov_b32 v15, v13
	s_branch .LBB68_10
.LBB68_9:                               ;   in Loop: Header=BB68_10 Depth=3
	s_or_b32 exec_lo, exec_lo, s1
	v_cmp_le_i32_e32 vcc_lo, v18, v29
	v_add_co_ci_u32_e32 v19, vcc_lo, 0, v19, vcc_lo
	v_cmp_ge_i32_e32 vcc_lo, v18, v29
	v_add_co_ci_u32_e32 v17, vcc_lo, 0, v17, vcc_lo
	s_delay_alu instid0(VALU_DEP_3) | instskip(NEXT) | instid1(VALU_DEP_2)
	v_cmp_ge_i32_e32 vcc_lo, v19, v26
	v_cmp_ge_i32_e64 s1, v17, v28
	s_delay_alu instid0(VALU_DEP_1) | instskip(NEXT) | instid1(SALU_CYCLE_1)
	s_or_b32 s1, vcc_lo, s1
	s_and_b32 s1, exec_lo, s1
	s_delay_alu instid0(SALU_CYCLE_1) | instskip(NEXT) | instid1(SALU_CYCLE_1)
	s_or_b32 s33, s1, s33
	s_and_not1_b32 exec_lo, exec_lo, s33
	s_cbranch_execz .LBB68_12
.LBB68_10:                              ;   Parent Loop BB68_3 Depth=1
                                        ;     Parent Loop BB68_7 Depth=2
                                        ; =>    This Inner Loop Header: Depth=3
	v_ashrrev_i32_e32 v20, 31, v19
	v_ashrrev_i32_e32 v18, 31, v17
	s_mov_b32 s1, exec_lo
	s_delay_alu instid0(VALU_DEP_2) | instskip(NEXT) | instid1(VALU_DEP_2)
	v_lshlrev_b64 v[29:30], 2, v[19:20]
	v_lshlrev_b64 v[21:22], 2, v[17:18]
	s_delay_alu instid0(VALU_DEP_2) | instskip(NEXT) | instid1(VALU_DEP_3)
	v_add_co_u32 v29, vcc_lo, s16, v29
	v_add_co_ci_u32_e32 v30, vcc_lo, s17, v30, vcc_lo
	s_delay_alu instid0(VALU_DEP_3) | instskip(NEXT) | instid1(VALU_DEP_4)
	v_add_co_u32 v31, vcc_lo, s6, v21
	v_add_co_ci_u32_e32 v32, vcc_lo, s7, v22, vcc_lo
	global_load_b32 v18, v[29:30], off
	global_load_b32 v29, v[31:32], off
	s_waitcnt vmcnt(0)
	v_cmpx_eq_u32_e64 v18, v29
	s_cbranch_execz .LBB68_9
; %bb.11:                               ;   in Loop: Header=BB68_10 Depth=3
	v_add_co_u32 v21, vcc_lo, s8, v21
	v_add_co_ci_u32_e32 v22, vcc_lo, s9, v22, vcc_lo
	v_lshlrev_b64 v[30:31], 4, v[19:20]
	global_load_b32 v21, v[21:22], off
	v_add_co_u32 v30, vcc_lo, s10, v30
	v_add_co_ci_u32_e32 v31, vcc_lo, s11, v31, vcc_lo
	s_waitcnt vmcnt(0)
	v_ashrrev_i32_e32 v22, 31, v21
	s_delay_alu instid0(VALU_DEP_1) | instskip(NEXT) | instid1(VALU_DEP_1)
	v_lshlrev_b64 v[20:21], 4, v[21:22]
	v_add_co_u32 v20, vcc_lo, s10, v20
	s_delay_alu instid0(VALU_DEP_2)
	v_add_co_ci_u32_e32 v21, vcc_lo, s11, v21, vcc_lo
	s_clause 0x1
	global_load_b128 v[30:33], v[30:31], off
	global_load_b128 v[34:37], v[20:21], off
	s_waitcnt vmcnt(0)
	v_fma_f64 v[13:14], v[30:31], v[34:35], v[13:14]
	v_fma_f64 v[15:16], v[32:33], v[34:35], v[15:16]
	s_delay_alu instid0(VALU_DEP_2) | instskip(NEXT) | instid1(VALU_DEP_2)
	v_fma_f64 v[13:14], -v[32:33], v[36:37], v[13:14]
	v_fma_f64 v[15:16], v[30:31], v[36:37], v[15:16]
	s_branch .LBB68_9
.LBB68_12:                              ;   in Loop: Header=BB68_7 Depth=2
	s_or_b32 exec_lo, exec_lo, s33
.LBB68_13:                              ;   in Loop: Header=BB68_7 Depth=2
	s_delay_alu instid0(SALU_CYCLE_1)
	s_or_b32 exec_lo, exec_lo, s31
	s_waitcnt vmcnt(1)
	v_add_f64 v[0:1], v[0:1], -v[13:14]
	v_add_f64 v[2:3], v[2:3], -v[15:16]
	s_mov_b32 s1, exec_lo
	v_cmpx_gt_i32_e64 v8, v12
	s_cbranch_execz .LBB68_15
; %bb.14:                               ;   in Loop: Header=BB68_7 Depth=2
	s_waitcnt vmcnt(0)
	v_mul_f64 v[12:13], v[6:7], v[6:7]
	s_delay_alu instid0(VALU_DEP_1) | instskip(NEXT) | instid1(VALU_DEP_1)
	v_fma_f64 v[12:13], v[4:5], v[4:5], v[12:13]
	v_div_scale_f64 v[14:15], null, v[12:13], v[12:13], 1.0
	v_div_scale_f64 v[20:21], vcc_lo, 1.0, v[12:13], 1.0
	s_delay_alu instid0(VALU_DEP_2) | instskip(SKIP_2) | instid1(VALU_DEP_1)
	v_rcp_f64_e32 v[16:17], v[14:15]
	s_waitcnt_depctr 0xfff
	v_fma_f64 v[18:19], -v[14:15], v[16:17], 1.0
	v_fma_f64 v[16:17], v[16:17], v[18:19], v[16:17]
	s_delay_alu instid0(VALU_DEP_1) | instskip(NEXT) | instid1(VALU_DEP_1)
	v_fma_f64 v[18:19], -v[14:15], v[16:17], 1.0
	v_fma_f64 v[16:17], v[16:17], v[18:19], v[16:17]
	s_delay_alu instid0(VALU_DEP_1) | instskip(NEXT) | instid1(VALU_DEP_1)
	v_mul_f64 v[18:19], v[20:21], v[16:17]
	v_fma_f64 v[14:15], -v[14:15], v[18:19], v[20:21]
	s_delay_alu instid0(VALU_DEP_1) | instskip(SKIP_2) | instid1(VALU_DEP_3)
	v_div_fmas_f64 v[14:15], v[14:15], v[16:17], v[18:19]
	v_mul_f64 v[16:17], v[6:7], v[2:3]
	v_mul_f64 v[6:7], v[6:7], -v[0:1]
	v_div_fixup_f64 v[12:13], v[14:15], v[12:13], 1.0
	s_delay_alu instid0(VALU_DEP_3) | instskip(NEXT) | instid1(VALU_DEP_3)
	v_fma_f64 v[0:1], v[0:1], v[4:5], v[16:17]
	v_fma_f64 v[2:3], v[2:3], v[4:5], v[6:7]
	s_delay_alu instid0(VALU_DEP_2) | instskip(NEXT) | instid1(VALU_DEP_2)
	v_mul_f64 v[0:1], v[12:13], v[0:1]
	v_mul_f64 v[2:3], v[12:13], v[2:3]
.LBB68_15:                              ;   in Loop: Header=BB68_7 Depth=2
	s_or_b32 exec_lo, exec_lo, s1
	s_delay_alu instid0(VALU_DEP_2) | instskip(NEXT) | instid1(VALU_DEP_2)
	v_cmp_gt_f64_e32 vcc_lo, 0, v[0:1]
	v_cmp_gt_f64_e64 s1, 0, v[2:3]
	s_waitcnt vmcnt(0)
	v_xor_b32_e32 v4, 0x80000000, v1
	v_xor_b32_e32 v6, 0x80000000, v3
                                        ; implicit-def: $vgpr12_vgpr13
	s_delay_alu instid0(VALU_DEP_2) | instskip(NEXT) | instid1(VALU_DEP_2)
	v_cndmask_b32_e32 v5, v1, v4, vcc_lo
	v_cndmask_b32_e64 v7, v3, v6, s1
	v_cndmask_b32_e32 v4, v0, v0, vcc_lo
	v_cndmask_b32_e64 v6, v2, v2, s1
	s_mov_b32 s1, exec_lo
	s_delay_alu instid0(VALU_DEP_1)
	v_cmpx_ngt_f64_e32 v[4:5], v[6:7]
	s_xor_b32 s1, exec_lo, s1
	s_cbranch_execnz .LBB68_18
; %bb.16:                               ;   in Loop: Header=BB68_7 Depth=2
	s_and_not1_saveexec_b32 s1, s1
	s_cbranch_execnz .LBB68_21
.LBB68_17:                              ;   in Loop: Header=BB68_7 Depth=2
	s_or_b32 exec_lo, exec_lo, s1
	s_delay_alu instid0(VALU_DEP_1) | instskip(NEXT) | instid1(VALU_DEP_1)
	v_cmp_class_f64_e64 s31, v[12:13], 0x1f8
	s_and_saveexec_b32 s1, s31
	s_cbranch_execz .LBB68_6
	s_branch .LBB68_22
.LBB68_18:                              ;   in Loop: Header=BB68_7 Depth=2
	v_mov_b32_e32 v12, 0
	v_mov_b32_e32 v13, 0
	s_mov_b32 s31, exec_lo
	v_cmpx_neq_f64_e32 0, v[2:3]
	s_cbranch_execz .LBB68_20
; %bb.19:                               ;   in Loop: Header=BB68_7 Depth=2
	v_div_scale_f64 v[12:13], null, v[6:7], v[6:7], v[4:5]
	v_div_scale_f64 v[18:19], vcc_lo, v[4:5], v[6:7], v[4:5]
	s_delay_alu instid0(VALU_DEP_2) | instskip(SKIP_2) | instid1(VALU_DEP_1)
	v_rcp_f64_e32 v[14:15], v[12:13]
	s_waitcnt_depctr 0xfff
	v_fma_f64 v[16:17], -v[12:13], v[14:15], 1.0
	v_fma_f64 v[14:15], v[14:15], v[16:17], v[14:15]
	s_delay_alu instid0(VALU_DEP_1) | instskip(NEXT) | instid1(VALU_DEP_1)
	v_fma_f64 v[16:17], -v[12:13], v[14:15], 1.0
	v_fma_f64 v[14:15], v[14:15], v[16:17], v[14:15]
	s_delay_alu instid0(VALU_DEP_1) | instskip(NEXT) | instid1(VALU_DEP_1)
	v_mul_f64 v[16:17], v[18:19], v[14:15]
	v_fma_f64 v[12:13], -v[12:13], v[16:17], v[18:19]
	s_delay_alu instid0(VALU_DEP_1) | instskip(NEXT) | instid1(VALU_DEP_1)
	v_div_fmas_f64 v[12:13], v[12:13], v[14:15], v[16:17]
	v_div_fixup_f64 v[4:5], v[12:13], v[6:7], v[4:5]
	s_delay_alu instid0(VALU_DEP_1) | instskip(NEXT) | instid1(VALU_DEP_1)
	v_fma_f64 v[4:5], v[4:5], v[4:5], 1.0
	v_cmp_gt_f64_e32 vcc_lo, 0x10000000, v[4:5]
	v_cndmask_b32_e64 v12, 0, 1, vcc_lo
	s_delay_alu instid0(VALU_DEP_1) | instskip(NEXT) | instid1(VALU_DEP_1)
	v_lshlrev_b32_e32 v12, 8, v12
	v_ldexp_f64 v[4:5], v[4:5], v12
	s_delay_alu instid0(VALU_DEP_1) | instskip(SKIP_3) | instid1(VALU_DEP_1)
	v_rsq_f64_e32 v[12:13], v[4:5]
	s_waitcnt_depctr 0xfff
	v_mul_f64 v[14:15], v[4:5], v[12:13]
	v_mul_f64 v[12:13], v[12:13], 0.5
	v_fma_f64 v[16:17], -v[12:13], v[14:15], 0.5
	s_delay_alu instid0(VALU_DEP_1) | instskip(SKIP_1) | instid1(VALU_DEP_2)
	v_fma_f64 v[14:15], v[14:15], v[16:17], v[14:15]
	v_fma_f64 v[12:13], v[12:13], v[16:17], v[12:13]
	v_fma_f64 v[16:17], -v[14:15], v[14:15], v[4:5]
	s_delay_alu instid0(VALU_DEP_1) | instskip(NEXT) | instid1(VALU_DEP_1)
	v_fma_f64 v[14:15], v[16:17], v[12:13], v[14:15]
	v_fma_f64 v[16:17], -v[14:15], v[14:15], v[4:5]
	s_delay_alu instid0(VALU_DEP_1) | instskip(SKIP_2) | instid1(VALU_DEP_2)
	v_fma_f64 v[12:13], v[16:17], v[12:13], v[14:15]
	v_cndmask_b32_e64 v14, 0, 0xffffff80, vcc_lo
	v_cmp_class_f64_e64 vcc_lo, v[4:5], 0x260
	v_ldexp_f64 v[12:13], v[12:13], v14
	s_delay_alu instid0(VALU_DEP_1) | instskip(NEXT) | instid1(VALU_DEP_1)
	v_dual_cndmask_b32 v5, v13, v5 :: v_dual_cndmask_b32 v4, v12, v4
	v_mul_f64 v[12:13], v[6:7], v[4:5]
.LBB68_20:                              ;   in Loop: Header=BB68_7 Depth=2
	s_or_b32 exec_lo, exec_lo, s31
                                        ; implicit-def: $vgpr4_vgpr5
                                        ; implicit-def: $vgpr6_vgpr7
	s_and_not1_saveexec_b32 s1, s1
	s_cbranch_execz .LBB68_17
.LBB68_21:                              ;   in Loop: Header=BB68_7 Depth=2
	v_div_scale_f64 v[12:13], null, v[4:5], v[4:5], v[6:7]
	v_div_scale_f64 v[18:19], vcc_lo, v[6:7], v[4:5], v[6:7]
	s_delay_alu instid0(VALU_DEP_2) | instskip(SKIP_2) | instid1(VALU_DEP_1)
	v_rcp_f64_e32 v[14:15], v[12:13]
	s_waitcnt_depctr 0xfff
	v_fma_f64 v[16:17], -v[12:13], v[14:15], 1.0
	v_fma_f64 v[14:15], v[14:15], v[16:17], v[14:15]
	s_delay_alu instid0(VALU_DEP_1) | instskip(NEXT) | instid1(VALU_DEP_1)
	v_fma_f64 v[16:17], -v[12:13], v[14:15], 1.0
	v_fma_f64 v[14:15], v[14:15], v[16:17], v[14:15]
	s_delay_alu instid0(VALU_DEP_1) | instskip(NEXT) | instid1(VALU_DEP_1)
	v_mul_f64 v[16:17], v[18:19], v[14:15]
	v_fma_f64 v[12:13], -v[12:13], v[16:17], v[18:19]
	s_delay_alu instid0(VALU_DEP_1) | instskip(NEXT) | instid1(VALU_DEP_1)
	v_div_fmas_f64 v[12:13], v[12:13], v[14:15], v[16:17]
	v_div_fixup_f64 v[6:7], v[12:13], v[4:5], v[6:7]
	s_delay_alu instid0(VALU_DEP_1) | instskip(NEXT) | instid1(VALU_DEP_1)
	v_fma_f64 v[6:7], v[6:7], v[6:7], 1.0
	v_cmp_gt_f64_e32 vcc_lo, 0x10000000, v[6:7]
	v_cndmask_b32_e64 v12, 0, 1, vcc_lo
	s_delay_alu instid0(VALU_DEP_1) | instskip(NEXT) | instid1(VALU_DEP_1)
	v_lshlrev_b32_e32 v12, 8, v12
	v_ldexp_f64 v[6:7], v[6:7], v12
	s_delay_alu instid0(VALU_DEP_1) | instskip(SKIP_3) | instid1(VALU_DEP_1)
	v_rsq_f64_e32 v[12:13], v[6:7]
	s_waitcnt_depctr 0xfff
	v_mul_f64 v[14:15], v[6:7], v[12:13]
	v_mul_f64 v[12:13], v[12:13], 0.5
	v_fma_f64 v[16:17], -v[12:13], v[14:15], 0.5
	s_delay_alu instid0(VALU_DEP_1) | instskip(SKIP_1) | instid1(VALU_DEP_2)
	v_fma_f64 v[14:15], v[14:15], v[16:17], v[14:15]
	v_fma_f64 v[12:13], v[12:13], v[16:17], v[12:13]
	v_fma_f64 v[16:17], -v[14:15], v[14:15], v[6:7]
	s_delay_alu instid0(VALU_DEP_1) | instskip(NEXT) | instid1(VALU_DEP_1)
	v_fma_f64 v[14:15], v[16:17], v[12:13], v[14:15]
	v_fma_f64 v[16:17], -v[14:15], v[14:15], v[6:7]
	s_delay_alu instid0(VALU_DEP_1) | instskip(SKIP_2) | instid1(VALU_DEP_2)
	v_fma_f64 v[12:13], v[16:17], v[12:13], v[14:15]
	v_cndmask_b32_e64 v14, 0, 0xffffff80, vcc_lo
	v_cmp_class_f64_e64 vcc_lo, v[6:7], 0x260
	v_ldexp_f64 v[12:13], v[12:13], v14
	s_delay_alu instid0(VALU_DEP_1) | instskip(NEXT) | instid1(VALU_DEP_1)
	v_dual_cndmask_b32 v7, v13, v7 :: v_dual_cndmask_b32 v6, v12, v6
	v_mul_f64 v[12:13], v[4:5], v[6:7]
	s_or_b32 exec_lo, exec_lo, s1
	s_delay_alu instid0(VALU_DEP_1) | instskip(NEXT) | instid1(VALU_DEP_1)
	v_cmp_class_f64_e64 s31, v[12:13], 0x1f8
	s_and_saveexec_b32 s1, s31
	s_cbranch_execz .LBB68_6
.LBB68_22:                              ;   in Loop: Header=BB68_7 Depth=2
	v_add_co_u32 v4, vcc_lo, s10, v10
	v_add_co_ci_u32_e32 v5, vcc_lo, s11, v11, vcc_lo
	global_store_b128 v[4:5], v[0:3], off
	s_branch .LBB68_6
.LBB68_23:
	s_nop 0
	s_sendmsg sendmsg(MSG_DEALLOC_VGPRS)
	s_endpgm
	.section	.rodata,"a",@progbits
	.p2align	6, 0x0
	.amdhsa_kernel _ZN9rocsparseL16kernel_calculateILi1024ELi32ELb0E21rocsparse_complex_numIdEiiEEvT4_T3_PKS4_S6_PKS3_PKT2_21rocsparse_index_base_S6_S6_S8_S6_S6_S8_S6_PS9_PNS_15floating_traitsIS9_E6data_tEPKSG_
		.amdhsa_group_segment_fixed_size 0
		.amdhsa_private_segment_fixed_size 0
		.amdhsa_kernarg_size 128
		.amdhsa_user_sgpr_count 15
		.amdhsa_user_sgpr_dispatch_ptr 0
		.amdhsa_user_sgpr_queue_ptr 0
		.amdhsa_user_sgpr_kernarg_segment_ptr 1
		.amdhsa_user_sgpr_dispatch_id 0
		.amdhsa_user_sgpr_private_segment_size 0
		.amdhsa_wavefront_size32 1
		.amdhsa_uses_dynamic_stack 0
		.amdhsa_enable_private_segment 0
		.amdhsa_system_sgpr_workgroup_id_x 1
		.amdhsa_system_sgpr_workgroup_id_y 0
		.amdhsa_system_sgpr_workgroup_id_z 0
		.amdhsa_system_sgpr_workgroup_info 0
		.amdhsa_system_vgpr_workitem_id 0
		.amdhsa_next_free_vgpr 38
		.amdhsa_next_free_sgpr 34
		.amdhsa_reserve_vcc 1
		.amdhsa_float_round_mode_32 0
		.amdhsa_float_round_mode_16_64 0
		.amdhsa_float_denorm_mode_32 3
		.amdhsa_float_denorm_mode_16_64 3
		.amdhsa_dx10_clamp 1
		.amdhsa_ieee_mode 1
		.amdhsa_fp16_overflow 0
		.amdhsa_workgroup_processor_mode 1
		.amdhsa_memory_ordered 1
		.amdhsa_forward_progress 0
		.amdhsa_shared_vgpr_count 0
		.amdhsa_exception_fp_ieee_invalid_op 0
		.amdhsa_exception_fp_denorm_src 0
		.amdhsa_exception_fp_ieee_div_zero 0
		.amdhsa_exception_fp_ieee_overflow 0
		.amdhsa_exception_fp_ieee_underflow 0
		.amdhsa_exception_fp_ieee_inexact 0
		.amdhsa_exception_int_div_zero 0
	.end_amdhsa_kernel
	.section	.text._ZN9rocsparseL16kernel_calculateILi1024ELi32ELb0E21rocsparse_complex_numIdEiiEEvT4_T3_PKS4_S6_PKS3_PKT2_21rocsparse_index_base_S6_S6_S8_S6_S6_S8_S6_PS9_PNS_15floating_traitsIS9_E6data_tEPKSG_,"axG",@progbits,_ZN9rocsparseL16kernel_calculateILi1024ELi32ELb0E21rocsparse_complex_numIdEiiEEvT4_T3_PKS4_S6_PKS3_PKT2_21rocsparse_index_base_S6_S6_S8_S6_S6_S8_S6_PS9_PNS_15floating_traitsIS9_E6data_tEPKSG_,comdat
.Lfunc_end68:
	.size	_ZN9rocsparseL16kernel_calculateILi1024ELi32ELb0E21rocsparse_complex_numIdEiiEEvT4_T3_PKS4_S6_PKS3_PKT2_21rocsparse_index_base_S6_S6_S8_S6_S6_S8_S6_PS9_PNS_15floating_traitsIS9_E6data_tEPKSG_, .Lfunc_end68-_ZN9rocsparseL16kernel_calculateILi1024ELi32ELb0E21rocsparse_complex_numIdEiiEEvT4_T3_PKS4_S6_PKS3_PKT2_21rocsparse_index_base_S6_S6_S8_S6_S6_S8_S6_PS9_PNS_15floating_traitsIS9_E6data_tEPKSG_
                                        ; -- End function
	.section	.AMDGPU.csdata,"",@progbits
; Kernel info:
; codeLenInByte = 1976
; NumSgprs: 36
; NumVgprs: 38
; ScratchSize: 0
; MemoryBound: 1
; FloatMode: 240
; IeeeMode: 1
; LDSByteSize: 0 bytes/workgroup (compile time only)
; SGPRBlocks: 4
; VGPRBlocks: 4
; NumSGPRsForWavesPerEU: 36
; NumVGPRsForWavesPerEU: 38
; Occupancy: 16
; WaveLimiterHint : 1
; COMPUTE_PGM_RSRC2:SCRATCH_EN: 0
; COMPUTE_PGM_RSRC2:USER_SGPR: 15
; COMPUTE_PGM_RSRC2:TRAP_HANDLER: 0
; COMPUTE_PGM_RSRC2:TGID_X_EN: 1
; COMPUTE_PGM_RSRC2:TGID_Y_EN: 0
; COMPUTE_PGM_RSRC2:TGID_Z_EN: 0
; COMPUTE_PGM_RSRC2:TIDIG_COMP_CNT: 0
	.section	.text._ZN9rocsparseL16kernel_calculateILi1024ELi64ELb0E21rocsparse_complex_numIdEiiEEvT4_T3_PKS4_S6_PKS3_PKT2_21rocsparse_index_base_S6_S6_S8_S6_S6_S8_S6_PS9_PNS_15floating_traitsIS9_E6data_tEPKSG_,"axG",@progbits,_ZN9rocsparseL16kernel_calculateILi1024ELi64ELb0E21rocsparse_complex_numIdEiiEEvT4_T3_PKS4_S6_PKS3_PKT2_21rocsparse_index_base_S6_S6_S8_S6_S6_S8_S6_PS9_PNS_15floating_traitsIS9_E6data_tEPKSG_,comdat
	.globl	_ZN9rocsparseL16kernel_calculateILi1024ELi64ELb0E21rocsparse_complex_numIdEiiEEvT4_T3_PKS4_S6_PKS3_PKT2_21rocsparse_index_base_S6_S6_S8_S6_S6_S8_S6_PS9_PNS_15floating_traitsIS9_E6data_tEPKSG_ ; -- Begin function _ZN9rocsparseL16kernel_calculateILi1024ELi64ELb0E21rocsparse_complex_numIdEiiEEvT4_T3_PKS4_S6_PKS3_PKT2_21rocsparse_index_base_S6_S6_S8_S6_S6_S8_S6_PS9_PNS_15floating_traitsIS9_E6data_tEPKSG_
	.p2align	8
	.type	_ZN9rocsparseL16kernel_calculateILi1024ELi64ELb0E21rocsparse_complex_numIdEiiEEvT4_T3_PKS4_S6_PKS3_PKT2_21rocsparse_index_base_S6_S6_S8_S6_S6_S8_S6_PS9_PNS_15floating_traitsIS9_E6data_tEPKSG_,@function
_ZN9rocsparseL16kernel_calculateILi1024ELi64ELb0E21rocsparse_complex_numIdEiiEEvT4_T3_PKS4_S6_PKS3_PKT2_21rocsparse_index_base_S6_S6_S8_S6_S6_S8_S6_PS9_PNS_15floating_traitsIS9_E6data_tEPKSG_: ; @_ZN9rocsparseL16kernel_calculateILi1024ELi64ELb0E21rocsparse_complex_numIdEiiEEvT4_T3_PKS4_S6_PKS3_PKT2_21rocsparse_index_base_S6_S6_S8_S6_S6_S8_S6_PS9_PNS_15floating_traitsIS9_E6data_tEPKSG_
; %bb.0:
	s_load_b32 s2, s[0:1], 0x0
	v_lshrrev_b32_e32 v1, 6, v0
	s_mov_b32 s3, exec_lo
	s_delay_alu instid0(VALU_DEP_1) | instskip(SKIP_1) | instid1(VALU_DEP_1)
	v_lshl_or_b32 v23, s15, 10, v1
	s_waitcnt lgkmcnt(0)
	v_cmpx_gt_i32_e64 s2, v23
	s_cbranch_execz .LBB69_23
; %bb.1:
	s_clause 0x3
	s_load_b32 s3, s[0:1], 0x28
	s_load_b256 s[4:11], s[0:1], 0x50
	s_load_b256 s[12:19], s[0:1], 0x30
	;; [unrolled: 1-line block ×3, first 2 shown]
	v_and_b32_e32 v0, 63, v0
	s_mov_b32 s28, 0
	s_waitcnt lgkmcnt(0)
	s_delay_alu instid0(VALU_DEP_1)
	v_subrev_nc_u32_e32 v24, s3, v0
	s_branch .LBB69_3
.LBB69_2:                               ;   in Loop: Header=BB69_3 Depth=1
	s_or_b32 exec_lo, exec_lo, s29
	s_add_i32 s28, s28, 1
	s_delay_alu instid0(SALU_CYCLE_1)
	s_cmp_lg_u32 s28, 64
	s_cbranch_scc0 .LBB69_23
.LBB69_3:                               ; =>This Loop Header: Depth=1
                                        ;     Child Loop BB69_7 Depth 2
                                        ;       Child Loop BB69_10 Depth 3
	v_lshl_add_u32 v8, s28, 4, v23
	s_mov_b32 s29, exec_lo
	s_delay_alu instid0(VALU_DEP_1)
	v_cmpx_gt_i32_e64 s2, v8
	s_cbranch_execz .LBB69_2
; %bb.4:                                ;   in Loop: Header=BB69_3 Depth=1
	v_ashrrev_i32_e32 v9, 31, v8
	s_delay_alu instid0(VALU_DEP_1) | instskip(NEXT) | instid1(VALU_DEP_1)
	v_lshlrev_b64 v[0:1], 2, v[8:9]
	v_add_co_u32 v2, vcc_lo, s22, v0
	s_delay_alu instid0(VALU_DEP_2)
	v_add_co_ci_u32_e32 v3, vcc_lo, s23, v1, vcc_lo
	v_add_co_u32 v4, vcc_lo, s20, v0
	v_add_co_ci_u32_e32 v5, vcc_lo, s21, v1, vcc_lo
	global_load_b32 v2, v[2:3], off
	global_load_b32 v3, v[4:5], off
	s_waitcnt vmcnt(1)
	v_subrev_nc_u32_e32 v25, s3, v2
	s_waitcnt vmcnt(0)
	v_add_nc_u32_e32 v9, v24, v3
	s_delay_alu instid0(VALU_DEP_1)
	v_cmp_lt_i32_e32 vcc_lo, v9, v25
	s_and_b32 exec_lo, exec_lo, vcc_lo
	s_cbranch_execz .LBB69_2
; %bb.5:                                ;   in Loop: Header=BB69_3 Depth=1
	v_add_co_u32 v2, vcc_lo, s14, v0
	v_add_co_ci_u32_e32 v3, vcc_lo, s15, v1, vcc_lo
	v_add_co_u32 v0, vcc_lo, s12, v0
	v_add_co_ci_u32_e32 v1, vcc_lo, s13, v1, vcc_lo
	s_mov_b32 s30, 0
	global_load_b32 v2, v[2:3], off
	global_load_b32 v0, v[0:1], off
	s_waitcnt vmcnt(1)
	v_subrev_nc_u32_e32 v26, s3, v2
	s_waitcnt vmcnt(0)
	v_cmp_lt_i32_e64 s0, v0, v2
	v_subrev_nc_u32_e32 v27, s3, v0
	s_branch .LBB69_7
.LBB69_6:                               ;   in Loop: Header=BB69_7 Depth=2
	s_or_b32 exec_lo, exec_lo, s1
	v_add_nc_u32_e32 v9, 64, v9
	s_delay_alu instid0(VALU_DEP_1) | instskip(SKIP_1) | instid1(SALU_CYCLE_1)
	v_cmp_ge_i32_e32 vcc_lo, v9, v25
	s_or_b32 s30, vcc_lo, s30
	s_and_not1_b32 exec_lo, exec_lo, s30
	s_cbranch_execz .LBB69_2
.LBB69_7:                               ;   Parent Loop BB69_3 Depth=1
                                        ; =>  This Loop Header: Depth=2
                                        ;       Child Loop BB69_10 Depth 3
	v_ashrrev_i32_e32 v10, 31, v9
	s_delay_alu instid0(VALU_DEP_1) | instskip(SKIP_1) | instid1(VALU_DEP_2)
	v_lshlrev_b64 v[0:1], 2, v[9:10]
	v_lshlrev_b64 v[10:11], 4, v[9:10]
	v_add_co_u32 v0, vcc_lo, s24, v0
	s_delay_alu instid0(VALU_DEP_3) | instskip(SKIP_3) | instid1(VALU_DEP_1)
	v_add_co_ci_u32_e32 v1, vcc_lo, s25, v1, vcc_lo
	global_load_b32 v0, v[0:1], off
	s_waitcnt vmcnt(0)
	v_subrev_nc_u32_e32 v12, s3, v0
	v_ashrrev_i32_e32 v13, 31, v12
	s_delay_alu instid0(VALU_DEP_1) | instskip(SKIP_2) | instid1(VALU_DEP_3)
	v_lshlrev_b64 v[0:1], 2, v[12:13]
	v_mov_b32_e32 v13, 0
	v_mov_b32_e32 v14, 0
	v_add_co_u32 v2, vcc_lo, s14, v0
	s_delay_alu instid0(VALU_DEP_4)
	v_add_co_ci_u32_e32 v3, vcc_lo, s15, v1, vcc_lo
	v_add_co_u32 v4, vcc_lo, s4, v0
	v_add_co_ci_u32_e32 v5, vcc_lo, s5, v1, vcc_lo
	global_load_b32 v2, v[2:3], off
	v_add_co_u32 v0, vcc_lo, s18, v0
	v_add_co_ci_u32_e32 v1, vcc_lo, s19, v1, vcc_lo
	v_add_co_u32 v6, vcc_lo, s26, v10
	v_add_co_ci_u32_e32 v7, vcc_lo, s27, v11, vcc_lo
	global_load_b32 v17, v[4:5], off
	global_load_b32 v18, v[0:1], off
	v_dual_mov_b32 v16, v14 :: v_dual_mov_b32 v15, v13
	s_waitcnt vmcnt(2)
	v_subrev_nc_u32_e32 v2, s3, v2
	s_delay_alu instid0(VALU_DEP_1) | instskip(NEXT) | instid1(VALU_DEP_1)
	v_ashrrev_i32_e32 v3, 31, v2
	v_lshlrev_b64 v[2:3], 4, v[2:3]
	s_delay_alu instid0(VALU_DEP_1) | instskip(NEXT) | instid1(VALU_DEP_2)
	v_add_co_u32 v4, vcc_lo, s10, v2
	v_add_co_ci_u32_e32 v5, vcc_lo, s11, v3, vcc_lo
	s_waitcnt vmcnt(0)
	v_cmp_lt_i32_e32 vcc_lo, v18, v17
	global_load_b128 v[0:3], v[6:7], off
	global_load_b128 v[4:7], v[4:5], off
	s_and_b32 s1, s0, vcc_lo
	s_delay_alu instid0(SALU_CYCLE_1)
	s_and_saveexec_b32 s31, s1
	s_cbranch_execz .LBB69_13
; %bb.8:                                ;   in Loop: Header=BB69_7 Depth=2
	v_mov_b32_e32 v13, 0
	v_dual_mov_b32 v14, 0 :: v_dual_mov_b32 v19, v27
	v_subrev_nc_u32_e32 v28, s3, v17
	v_subrev_nc_u32_e32 v17, s3, v18
	s_mov_b32 s33, 0
	s_delay_alu instid0(VALU_DEP_3)
	v_dual_mov_b32 v16, v14 :: v_dual_mov_b32 v15, v13
	s_branch .LBB69_10
.LBB69_9:                               ;   in Loop: Header=BB69_10 Depth=3
	s_or_b32 exec_lo, exec_lo, s1
	v_cmp_le_i32_e32 vcc_lo, v18, v29
	v_add_co_ci_u32_e32 v19, vcc_lo, 0, v19, vcc_lo
	v_cmp_ge_i32_e32 vcc_lo, v18, v29
	v_add_co_ci_u32_e32 v17, vcc_lo, 0, v17, vcc_lo
	s_delay_alu instid0(VALU_DEP_3) | instskip(NEXT) | instid1(VALU_DEP_2)
	v_cmp_ge_i32_e32 vcc_lo, v19, v26
	v_cmp_ge_i32_e64 s1, v17, v28
	s_delay_alu instid0(VALU_DEP_1) | instskip(NEXT) | instid1(SALU_CYCLE_1)
	s_or_b32 s1, vcc_lo, s1
	s_and_b32 s1, exec_lo, s1
	s_delay_alu instid0(SALU_CYCLE_1) | instskip(NEXT) | instid1(SALU_CYCLE_1)
	s_or_b32 s33, s1, s33
	s_and_not1_b32 exec_lo, exec_lo, s33
	s_cbranch_execz .LBB69_12
.LBB69_10:                              ;   Parent Loop BB69_3 Depth=1
                                        ;     Parent Loop BB69_7 Depth=2
                                        ; =>    This Inner Loop Header: Depth=3
	v_ashrrev_i32_e32 v20, 31, v19
	v_ashrrev_i32_e32 v18, 31, v17
	s_mov_b32 s1, exec_lo
	s_delay_alu instid0(VALU_DEP_2) | instskip(NEXT) | instid1(VALU_DEP_2)
	v_lshlrev_b64 v[29:30], 2, v[19:20]
	v_lshlrev_b64 v[21:22], 2, v[17:18]
	s_delay_alu instid0(VALU_DEP_2) | instskip(NEXT) | instid1(VALU_DEP_3)
	v_add_co_u32 v29, vcc_lo, s16, v29
	v_add_co_ci_u32_e32 v30, vcc_lo, s17, v30, vcc_lo
	s_delay_alu instid0(VALU_DEP_3) | instskip(NEXT) | instid1(VALU_DEP_4)
	v_add_co_u32 v31, vcc_lo, s6, v21
	v_add_co_ci_u32_e32 v32, vcc_lo, s7, v22, vcc_lo
	global_load_b32 v18, v[29:30], off
	global_load_b32 v29, v[31:32], off
	s_waitcnt vmcnt(0)
	v_cmpx_eq_u32_e64 v18, v29
	s_cbranch_execz .LBB69_9
; %bb.11:                               ;   in Loop: Header=BB69_10 Depth=3
	v_add_co_u32 v21, vcc_lo, s8, v21
	v_add_co_ci_u32_e32 v22, vcc_lo, s9, v22, vcc_lo
	v_lshlrev_b64 v[30:31], 4, v[19:20]
	global_load_b32 v21, v[21:22], off
	v_add_co_u32 v30, vcc_lo, s10, v30
	v_add_co_ci_u32_e32 v31, vcc_lo, s11, v31, vcc_lo
	s_waitcnt vmcnt(0)
	v_ashrrev_i32_e32 v22, 31, v21
	s_delay_alu instid0(VALU_DEP_1) | instskip(NEXT) | instid1(VALU_DEP_1)
	v_lshlrev_b64 v[20:21], 4, v[21:22]
	v_add_co_u32 v20, vcc_lo, s10, v20
	s_delay_alu instid0(VALU_DEP_2)
	v_add_co_ci_u32_e32 v21, vcc_lo, s11, v21, vcc_lo
	s_clause 0x1
	global_load_b128 v[30:33], v[30:31], off
	global_load_b128 v[34:37], v[20:21], off
	s_waitcnt vmcnt(0)
	v_fma_f64 v[13:14], v[30:31], v[34:35], v[13:14]
	v_fma_f64 v[15:16], v[32:33], v[34:35], v[15:16]
	s_delay_alu instid0(VALU_DEP_2) | instskip(NEXT) | instid1(VALU_DEP_2)
	v_fma_f64 v[13:14], -v[32:33], v[36:37], v[13:14]
	v_fma_f64 v[15:16], v[30:31], v[36:37], v[15:16]
	s_branch .LBB69_9
.LBB69_12:                              ;   in Loop: Header=BB69_7 Depth=2
	s_or_b32 exec_lo, exec_lo, s33
.LBB69_13:                              ;   in Loop: Header=BB69_7 Depth=2
	s_delay_alu instid0(SALU_CYCLE_1)
	s_or_b32 exec_lo, exec_lo, s31
	s_waitcnt vmcnt(1)
	v_add_f64 v[0:1], v[0:1], -v[13:14]
	v_add_f64 v[2:3], v[2:3], -v[15:16]
	s_mov_b32 s1, exec_lo
	v_cmpx_gt_i32_e64 v8, v12
	s_cbranch_execz .LBB69_15
; %bb.14:                               ;   in Loop: Header=BB69_7 Depth=2
	s_waitcnt vmcnt(0)
	v_mul_f64 v[12:13], v[6:7], v[6:7]
	s_delay_alu instid0(VALU_DEP_1) | instskip(NEXT) | instid1(VALU_DEP_1)
	v_fma_f64 v[12:13], v[4:5], v[4:5], v[12:13]
	v_div_scale_f64 v[14:15], null, v[12:13], v[12:13], 1.0
	v_div_scale_f64 v[20:21], vcc_lo, 1.0, v[12:13], 1.0
	s_delay_alu instid0(VALU_DEP_2) | instskip(SKIP_2) | instid1(VALU_DEP_1)
	v_rcp_f64_e32 v[16:17], v[14:15]
	s_waitcnt_depctr 0xfff
	v_fma_f64 v[18:19], -v[14:15], v[16:17], 1.0
	v_fma_f64 v[16:17], v[16:17], v[18:19], v[16:17]
	s_delay_alu instid0(VALU_DEP_1) | instskip(NEXT) | instid1(VALU_DEP_1)
	v_fma_f64 v[18:19], -v[14:15], v[16:17], 1.0
	v_fma_f64 v[16:17], v[16:17], v[18:19], v[16:17]
	s_delay_alu instid0(VALU_DEP_1) | instskip(NEXT) | instid1(VALU_DEP_1)
	v_mul_f64 v[18:19], v[20:21], v[16:17]
	v_fma_f64 v[14:15], -v[14:15], v[18:19], v[20:21]
	s_delay_alu instid0(VALU_DEP_1) | instskip(SKIP_2) | instid1(VALU_DEP_3)
	v_div_fmas_f64 v[14:15], v[14:15], v[16:17], v[18:19]
	v_mul_f64 v[16:17], v[6:7], v[2:3]
	v_mul_f64 v[6:7], v[6:7], -v[0:1]
	v_div_fixup_f64 v[12:13], v[14:15], v[12:13], 1.0
	s_delay_alu instid0(VALU_DEP_3) | instskip(NEXT) | instid1(VALU_DEP_3)
	v_fma_f64 v[0:1], v[0:1], v[4:5], v[16:17]
	v_fma_f64 v[2:3], v[2:3], v[4:5], v[6:7]
	s_delay_alu instid0(VALU_DEP_2) | instskip(NEXT) | instid1(VALU_DEP_2)
	v_mul_f64 v[0:1], v[12:13], v[0:1]
	v_mul_f64 v[2:3], v[12:13], v[2:3]
.LBB69_15:                              ;   in Loop: Header=BB69_7 Depth=2
	s_or_b32 exec_lo, exec_lo, s1
	s_delay_alu instid0(VALU_DEP_2) | instskip(NEXT) | instid1(VALU_DEP_2)
	v_cmp_gt_f64_e32 vcc_lo, 0, v[0:1]
	v_cmp_gt_f64_e64 s1, 0, v[2:3]
	s_waitcnt vmcnt(0)
	v_xor_b32_e32 v4, 0x80000000, v1
	v_xor_b32_e32 v6, 0x80000000, v3
                                        ; implicit-def: $vgpr12_vgpr13
	s_delay_alu instid0(VALU_DEP_2) | instskip(NEXT) | instid1(VALU_DEP_2)
	v_cndmask_b32_e32 v5, v1, v4, vcc_lo
	v_cndmask_b32_e64 v7, v3, v6, s1
	v_cndmask_b32_e32 v4, v0, v0, vcc_lo
	v_cndmask_b32_e64 v6, v2, v2, s1
	s_mov_b32 s1, exec_lo
	s_delay_alu instid0(VALU_DEP_1)
	v_cmpx_ngt_f64_e32 v[4:5], v[6:7]
	s_xor_b32 s1, exec_lo, s1
	s_cbranch_execnz .LBB69_18
; %bb.16:                               ;   in Loop: Header=BB69_7 Depth=2
	s_and_not1_saveexec_b32 s1, s1
	s_cbranch_execnz .LBB69_21
.LBB69_17:                              ;   in Loop: Header=BB69_7 Depth=2
	s_or_b32 exec_lo, exec_lo, s1
	s_delay_alu instid0(VALU_DEP_1) | instskip(NEXT) | instid1(VALU_DEP_1)
	v_cmp_class_f64_e64 s31, v[12:13], 0x1f8
	s_and_saveexec_b32 s1, s31
	s_cbranch_execz .LBB69_6
	s_branch .LBB69_22
.LBB69_18:                              ;   in Loop: Header=BB69_7 Depth=2
	v_mov_b32_e32 v12, 0
	v_mov_b32_e32 v13, 0
	s_mov_b32 s31, exec_lo
	v_cmpx_neq_f64_e32 0, v[2:3]
	s_cbranch_execz .LBB69_20
; %bb.19:                               ;   in Loop: Header=BB69_7 Depth=2
	v_div_scale_f64 v[12:13], null, v[6:7], v[6:7], v[4:5]
	v_div_scale_f64 v[18:19], vcc_lo, v[4:5], v[6:7], v[4:5]
	s_delay_alu instid0(VALU_DEP_2) | instskip(SKIP_2) | instid1(VALU_DEP_1)
	v_rcp_f64_e32 v[14:15], v[12:13]
	s_waitcnt_depctr 0xfff
	v_fma_f64 v[16:17], -v[12:13], v[14:15], 1.0
	v_fma_f64 v[14:15], v[14:15], v[16:17], v[14:15]
	s_delay_alu instid0(VALU_DEP_1) | instskip(NEXT) | instid1(VALU_DEP_1)
	v_fma_f64 v[16:17], -v[12:13], v[14:15], 1.0
	v_fma_f64 v[14:15], v[14:15], v[16:17], v[14:15]
	s_delay_alu instid0(VALU_DEP_1) | instskip(NEXT) | instid1(VALU_DEP_1)
	v_mul_f64 v[16:17], v[18:19], v[14:15]
	v_fma_f64 v[12:13], -v[12:13], v[16:17], v[18:19]
	s_delay_alu instid0(VALU_DEP_1) | instskip(NEXT) | instid1(VALU_DEP_1)
	v_div_fmas_f64 v[12:13], v[12:13], v[14:15], v[16:17]
	v_div_fixup_f64 v[4:5], v[12:13], v[6:7], v[4:5]
	s_delay_alu instid0(VALU_DEP_1) | instskip(NEXT) | instid1(VALU_DEP_1)
	v_fma_f64 v[4:5], v[4:5], v[4:5], 1.0
	v_cmp_gt_f64_e32 vcc_lo, 0x10000000, v[4:5]
	v_cndmask_b32_e64 v12, 0, 1, vcc_lo
	s_delay_alu instid0(VALU_DEP_1) | instskip(NEXT) | instid1(VALU_DEP_1)
	v_lshlrev_b32_e32 v12, 8, v12
	v_ldexp_f64 v[4:5], v[4:5], v12
	s_delay_alu instid0(VALU_DEP_1) | instskip(SKIP_3) | instid1(VALU_DEP_1)
	v_rsq_f64_e32 v[12:13], v[4:5]
	s_waitcnt_depctr 0xfff
	v_mul_f64 v[14:15], v[4:5], v[12:13]
	v_mul_f64 v[12:13], v[12:13], 0.5
	v_fma_f64 v[16:17], -v[12:13], v[14:15], 0.5
	s_delay_alu instid0(VALU_DEP_1) | instskip(SKIP_1) | instid1(VALU_DEP_2)
	v_fma_f64 v[14:15], v[14:15], v[16:17], v[14:15]
	v_fma_f64 v[12:13], v[12:13], v[16:17], v[12:13]
	v_fma_f64 v[16:17], -v[14:15], v[14:15], v[4:5]
	s_delay_alu instid0(VALU_DEP_1) | instskip(NEXT) | instid1(VALU_DEP_1)
	v_fma_f64 v[14:15], v[16:17], v[12:13], v[14:15]
	v_fma_f64 v[16:17], -v[14:15], v[14:15], v[4:5]
	s_delay_alu instid0(VALU_DEP_1) | instskip(SKIP_2) | instid1(VALU_DEP_2)
	v_fma_f64 v[12:13], v[16:17], v[12:13], v[14:15]
	v_cndmask_b32_e64 v14, 0, 0xffffff80, vcc_lo
	v_cmp_class_f64_e64 vcc_lo, v[4:5], 0x260
	v_ldexp_f64 v[12:13], v[12:13], v14
	s_delay_alu instid0(VALU_DEP_1) | instskip(NEXT) | instid1(VALU_DEP_1)
	v_dual_cndmask_b32 v5, v13, v5 :: v_dual_cndmask_b32 v4, v12, v4
	v_mul_f64 v[12:13], v[6:7], v[4:5]
.LBB69_20:                              ;   in Loop: Header=BB69_7 Depth=2
	s_or_b32 exec_lo, exec_lo, s31
                                        ; implicit-def: $vgpr4_vgpr5
                                        ; implicit-def: $vgpr6_vgpr7
	s_and_not1_saveexec_b32 s1, s1
	s_cbranch_execz .LBB69_17
.LBB69_21:                              ;   in Loop: Header=BB69_7 Depth=2
	v_div_scale_f64 v[12:13], null, v[4:5], v[4:5], v[6:7]
	v_div_scale_f64 v[18:19], vcc_lo, v[6:7], v[4:5], v[6:7]
	s_delay_alu instid0(VALU_DEP_2) | instskip(SKIP_2) | instid1(VALU_DEP_1)
	v_rcp_f64_e32 v[14:15], v[12:13]
	s_waitcnt_depctr 0xfff
	v_fma_f64 v[16:17], -v[12:13], v[14:15], 1.0
	v_fma_f64 v[14:15], v[14:15], v[16:17], v[14:15]
	s_delay_alu instid0(VALU_DEP_1) | instskip(NEXT) | instid1(VALU_DEP_1)
	v_fma_f64 v[16:17], -v[12:13], v[14:15], 1.0
	v_fma_f64 v[14:15], v[14:15], v[16:17], v[14:15]
	s_delay_alu instid0(VALU_DEP_1) | instskip(NEXT) | instid1(VALU_DEP_1)
	v_mul_f64 v[16:17], v[18:19], v[14:15]
	v_fma_f64 v[12:13], -v[12:13], v[16:17], v[18:19]
	s_delay_alu instid0(VALU_DEP_1) | instskip(NEXT) | instid1(VALU_DEP_1)
	v_div_fmas_f64 v[12:13], v[12:13], v[14:15], v[16:17]
	v_div_fixup_f64 v[6:7], v[12:13], v[4:5], v[6:7]
	s_delay_alu instid0(VALU_DEP_1) | instskip(NEXT) | instid1(VALU_DEP_1)
	v_fma_f64 v[6:7], v[6:7], v[6:7], 1.0
	v_cmp_gt_f64_e32 vcc_lo, 0x10000000, v[6:7]
	v_cndmask_b32_e64 v12, 0, 1, vcc_lo
	s_delay_alu instid0(VALU_DEP_1) | instskip(NEXT) | instid1(VALU_DEP_1)
	v_lshlrev_b32_e32 v12, 8, v12
	v_ldexp_f64 v[6:7], v[6:7], v12
	s_delay_alu instid0(VALU_DEP_1) | instskip(SKIP_3) | instid1(VALU_DEP_1)
	v_rsq_f64_e32 v[12:13], v[6:7]
	s_waitcnt_depctr 0xfff
	v_mul_f64 v[14:15], v[6:7], v[12:13]
	v_mul_f64 v[12:13], v[12:13], 0.5
	v_fma_f64 v[16:17], -v[12:13], v[14:15], 0.5
	s_delay_alu instid0(VALU_DEP_1) | instskip(SKIP_1) | instid1(VALU_DEP_2)
	v_fma_f64 v[14:15], v[14:15], v[16:17], v[14:15]
	v_fma_f64 v[12:13], v[12:13], v[16:17], v[12:13]
	v_fma_f64 v[16:17], -v[14:15], v[14:15], v[6:7]
	s_delay_alu instid0(VALU_DEP_1) | instskip(NEXT) | instid1(VALU_DEP_1)
	v_fma_f64 v[14:15], v[16:17], v[12:13], v[14:15]
	v_fma_f64 v[16:17], -v[14:15], v[14:15], v[6:7]
	s_delay_alu instid0(VALU_DEP_1) | instskip(SKIP_2) | instid1(VALU_DEP_2)
	v_fma_f64 v[12:13], v[16:17], v[12:13], v[14:15]
	v_cndmask_b32_e64 v14, 0, 0xffffff80, vcc_lo
	v_cmp_class_f64_e64 vcc_lo, v[6:7], 0x260
	v_ldexp_f64 v[12:13], v[12:13], v14
	s_delay_alu instid0(VALU_DEP_1) | instskip(NEXT) | instid1(VALU_DEP_1)
	v_dual_cndmask_b32 v7, v13, v7 :: v_dual_cndmask_b32 v6, v12, v6
	v_mul_f64 v[12:13], v[4:5], v[6:7]
	s_or_b32 exec_lo, exec_lo, s1
	s_delay_alu instid0(VALU_DEP_1) | instskip(NEXT) | instid1(VALU_DEP_1)
	v_cmp_class_f64_e64 s31, v[12:13], 0x1f8
	s_and_saveexec_b32 s1, s31
	s_cbranch_execz .LBB69_6
.LBB69_22:                              ;   in Loop: Header=BB69_7 Depth=2
	v_add_co_u32 v4, vcc_lo, s10, v10
	v_add_co_ci_u32_e32 v5, vcc_lo, s11, v11, vcc_lo
	global_store_b128 v[4:5], v[0:3], off
	s_branch .LBB69_6
.LBB69_23:
	s_nop 0
	s_sendmsg sendmsg(MSG_DEALLOC_VGPRS)
	s_endpgm
	.section	.rodata,"a",@progbits
	.p2align	6, 0x0
	.amdhsa_kernel _ZN9rocsparseL16kernel_calculateILi1024ELi64ELb0E21rocsparse_complex_numIdEiiEEvT4_T3_PKS4_S6_PKS3_PKT2_21rocsparse_index_base_S6_S6_S8_S6_S6_S8_S6_PS9_PNS_15floating_traitsIS9_E6data_tEPKSG_
		.amdhsa_group_segment_fixed_size 0
		.amdhsa_private_segment_fixed_size 0
		.amdhsa_kernarg_size 128
		.amdhsa_user_sgpr_count 15
		.amdhsa_user_sgpr_dispatch_ptr 0
		.amdhsa_user_sgpr_queue_ptr 0
		.amdhsa_user_sgpr_kernarg_segment_ptr 1
		.amdhsa_user_sgpr_dispatch_id 0
		.amdhsa_user_sgpr_private_segment_size 0
		.amdhsa_wavefront_size32 1
		.amdhsa_uses_dynamic_stack 0
		.amdhsa_enable_private_segment 0
		.amdhsa_system_sgpr_workgroup_id_x 1
		.amdhsa_system_sgpr_workgroup_id_y 0
		.amdhsa_system_sgpr_workgroup_id_z 0
		.amdhsa_system_sgpr_workgroup_info 0
		.amdhsa_system_vgpr_workitem_id 0
		.amdhsa_next_free_vgpr 38
		.amdhsa_next_free_sgpr 34
		.amdhsa_reserve_vcc 1
		.amdhsa_float_round_mode_32 0
		.amdhsa_float_round_mode_16_64 0
		.amdhsa_float_denorm_mode_32 3
		.amdhsa_float_denorm_mode_16_64 3
		.amdhsa_dx10_clamp 1
		.amdhsa_ieee_mode 1
		.amdhsa_fp16_overflow 0
		.amdhsa_workgroup_processor_mode 1
		.amdhsa_memory_ordered 1
		.amdhsa_forward_progress 0
		.amdhsa_shared_vgpr_count 0
		.amdhsa_exception_fp_ieee_invalid_op 0
		.amdhsa_exception_fp_denorm_src 0
		.amdhsa_exception_fp_ieee_div_zero 0
		.amdhsa_exception_fp_ieee_overflow 0
		.amdhsa_exception_fp_ieee_underflow 0
		.amdhsa_exception_fp_ieee_inexact 0
		.amdhsa_exception_int_div_zero 0
	.end_amdhsa_kernel
	.section	.text._ZN9rocsparseL16kernel_calculateILi1024ELi64ELb0E21rocsparse_complex_numIdEiiEEvT4_T3_PKS4_S6_PKS3_PKT2_21rocsparse_index_base_S6_S6_S8_S6_S6_S8_S6_PS9_PNS_15floating_traitsIS9_E6data_tEPKSG_,"axG",@progbits,_ZN9rocsparseL16kernel_calculateILi1024ELi64ELb0E21rocsparse_complex_numIdEiiEEvT4_T3_PKS4_S6_PKS3_PKT2_21rocsparse_index_base_S6_S6_S8_S6_S6_S8_S6_PS9_PNS_15floating_traitsIS9_E6data_tEPKSG_,comdat
.Lfunc_end69:
	.size	_ZN9rocsparseL16kernel_calculateILi1024ELi64ELb0E21rocsparse_complex_numIdEiiEEvT4_T3_PKS4_S6_PKS3_PKT2_21rocsparse_index_base_S6_S6_S8_S6_S6_S8_S6_PS9_PNS_15floating_traitsIS9_E6data_tEPKSG_, .Lfunc_end69-_ZN9rocsparseL16kernel_calculateILi1024ELi64ELb0E21rocsparse_complex_numIdEiiEEvT4_T3_PKS4_S6_PKS3_PKT2_21rocsparse_index_base_S6_S6_S8_S6_S6_S8_S6_PS9_PNS_15floating_traitsIS9_E6data_tEPKSG_
                                        ; -- End function
	.section	.AMDGPU.csdata,"",@progbits
; Kernel info:
; codeLenInByte = 1976
; NumSgprs: 36
; NumVgprs: 38
; ScratchSize: 0
; MemoryBound: 1
; FloatMode: 240
; IeeeMode: 1
; LDSByteSize: 0 bytes/workgroup (compile time only)
; SGPRBlocks: 4
; VGPRBlocks: 4
; NumSGPRsForWavesPerEU: 36
; NumVGPRsForWavesPerEU: 38
; Occupancy: 16
; WaveLimiterHint : 1
; COMPUTE_PGM_RSRC2:SCRATCH_EN: 0
; COMPUTE_PGM_RSRC2:USER_SGPR: 15
; COMPUTE_PGM_RSRC2:TRAP_HANDLER: 0
; COMPUTE_PGM_RSRC2:TGID_X_EN: 1
; COMPUTE_PGM_RSRC2:TGID_Y_EN: 0
; COMPUTE_PGM_RSRC2:TGID_Z_EN: 0
; COMPUTE_PGM_RSRC2:TIDIG_COMP_CNT: 0
	.section	.text._ZN9rocsparseL20kernel_calculate_cooILi1024ELi32ELb0E21rocsparse_complex_numIdEiiEEvT4_T3_PKS3_S6_PKT2_21rocsparse_index_base_PKS4_SC_S6_SC_SC_S6_SC_PS7_PNS_15floating_traitsIS7_E6data_tEPKSG_,"axG",@progbits,_ZN9rocsparseL20kernel_calculate_cooILi1024ELi32ELb0E21rocsparse_complex_numIdEiiEEvT4_T3_PKS3_S6_PKT2_21rocsparse_index_base_PKS4_SC_S6_SC_SC_S6_SC_PS7_PNS_15floating_traitsIS7_E6data_tEPKSG_,comdat
	.globl	_ZN9rocsparseL20kernel_calculate_cooILi1024ELi32ELb0E21rocsparse_complex_numIdEiiEEvT4_T3_PKS3_S6_PKT2_21rocsparse_index_base_PKS4_SC_S6_SC_SC_S6_SC_PS7_PNS_15floating_traitsIS7_E6data_tEPKSG_ ; -- Begin function _ZN9rocsparseL20kernel_calculate_cooILi1024ELi32ELb0E21rocsparse_complex_numIdEiiEEvT4_T3_PKS3_S6_PKT2_21rocsparse_index_base_PKS4_SC_S6_SC_SC_S6_SC_PS7_PNS_15floating_traitsIS7_E6data_tEPKSG_
	.p2align	8
	.type	_ZN9rocsparseL20kernel_calculate_cooILi1024ELi32ELb0E21rocsparse_complex_numIdEiiEEvT4_T3_PKS3_S6_PKT2_21rocsparse_index_base_PKS4_SC_S6_SC_SC_S6_SC_PS7_PNS_15floating_traitsIS7_E6data_tEPKSG_,@function
_ZN9rocsparseL20kernel_calculate_cooILi1024ELi32ELb0E21rocsparse_complex_numIdEiiEEvT4_T3_PKS3_S6_PKT2_21rocsparse_index_base_PKS4_SC_S6_SC_SC_S6_SC_PS7_PNS_15floating_traitsIS7_E6data_tEPKSG_: ; @_ZN9rocsparseL20kernel_calculate_cooILi1024ELi32ELb0E21rocsparse_complex_numIdEiiEEvT4_T3_PKS3_S6_PKT2_21rocsparse_index_base_PKS4_SC_S6_SC_SC_S6_SC_PS7_PNS_15floating_traitsIS7_E6data_tEPKSG_
; %bb.0:
	s_load_b32 s24, s[0:1], 0x4
	v_lshl_or_b32 v8, s15, 16, v0
	s_mov_b32 s2, exec_lo
	s_waitcnt lgkmcnt(0)
	s_delay_alu instid0(VALU_DEP_1)
	v_cmpx_gt_i32_e64 s24, v8
	s_cbranch_execz .LBB70_20
; %bb.1:
	s_clause 0x4
	s_load_b256 s[4:11], s[0:1], 0x48
	s_load_b128 s[20:23], s[0:1], 0x8
	s_load_b64 s[2:3], s[0:1], 0x18
	s_load_b256 s[12:19], s[0:1], 0x28
	s_load_b32 s1, s[0:1], 0x20
	s_mov_b32 s25, 0
	s_branch .LBB70_3
.LBB70_2:                               ;   in Loop: Header=BB70_3 Depth=1
	s_or_b32 exec_lo, exec_lo, s26
	v_add_nc_u32_e32 v8, 0x400, v8
	s_add_i32 s25, s25, 1
	s_delay_alu instid0(SALU_CYCLE_1)
	s_cmp_lg_u32 s25, 64
	s_cbranch_scc0 .LBB70_20
.LBB70_3:                               ; =>This Loop Header: Depth=1
                                        ;     Child Loop BB70_7 Depth 2
	s_mov_b32 s26, exec_lo
	v_cmpx_gt_i32_e64 s24, v8
	s_cbranch_execz .LBB70_2
; %bb.4:                                ;   in Loop: Header=BB70_3 Depth=1
	v_ashrrev_i32_e32 v9, 31, v8
	s_delay_alu instid0(VALU_DEP_1) | instskip(SKIP_2) | instid1(VALU_DEP_2)
	v_lshlrev_b64 v[0:1], 2, v[8:9]
	v_lshlrev_b64 v[9:10], 4, v[8:9]
	s_waitcnt lgkmcnt(0)
	v_add_co_u32 v2, vcc_lo, s22, v0
	s_delay_alu instid0(VALU_DEP_3)
	v_add_co_ci_u32_e32 v3, vcc_lo, s23, v1, vcc_lo
	v_add_co_u32 v0, vcc_lo, s20, v0
	v_add_co_ci_u32_e32 v1, vcc_lo, s21, v1, vcc_lo
	global_load_b32 v21, v[2:3], off
	global_load_b32 v22, v[0:1], off
	s_waitcnt vmcnt(1)
	v_subrev_nc_u32_e32 v0, s1, v21
	s_delay_alu instid0(VALU_DEP_1) | instskip(NEXT) | instid1(VALU_DEP_1)
	v_ashrrev_i32_e32 v1, 31, v0
	v_lshlrev_b64 v[0:1], 2, v[0:1]
	s_delay_alu instid0(VALU_DEP_1) | instskip(NEXT) | instid1(VALU_DEP_2)
	v_add_co_u32 v2, vcc_lo, s14, v0
	v_add_co_ci_u32_e32 v3, vcc_lo, s15, v1, vcc_lo
	global_load_b32 v6, v[2:3], off
	s_waitcnt vmcnt(1)
	v_subrev_nc_u32_e32 v2, s1, v22
	s_delay_alu instid0(VALU_DEP_1) | instskip(NEXT) | instid1(VALU_DEP_1)
	v_ashrrev_i32_e32 v3, 31, v2
	v_lshlrev_b64 v[2:3], 2, v[2:3]
	s_delay_alu instid0(VALU_DEP_1) | instskip(NEXT) | instid1(VALU_DEP_2)
	v_add_co_u32 v4, vcc_lo, s14, v2
	v_add_co_ci_u32_e32 v5, vcc_lo, s15, v3, vcc_lo
	global_load_b32 v15, v[4:5], off
	v_add_co_u32 v4, vcc_lo, s4, v0
	v_add_co_ci_u32_e32 v5, vcc_lo, s5, v1, vcc_lo
	v_add_co_u32 v2, vcc_lo, s12, v2
	v_add_co_ci_u32_e32 v3, vcc_lo, s13, v3, vcc_lo
	;; [unrolled: 2-line block ×4, first 2 shown]
	global_load_b32 v17, v[4:5], off
	global_load_b32 v16, v[2:3], off
	;; [unrolled: 1-line block ×3, first 2 shown]
	s_waitcnt vmcnt(4)
	v_subrev_nc_u32_e32 v6, s1, v6
	s_delay_alu instid0(VALU_DEP_1) | instskip(NEXT) | instid1(VALU_DEP_1)
	v_ashrrev_i32_e32 v7, 31, v6
	v_lshlrev_b64 v[6:7], 4, v[6:7]
	s_delay_alu instid0(VALU_DEP_1) | instskip(NEXT) | instid1(VALU_DEP_2)
	v_add_co_u32 v4, vcc_lo, s10, v6
	v_add_co_ci_u32_e32 v5, vcc_lo, s11, v7, vcc_lo
	global_load_b128 v[0:3], v[11:12], off
	global_load_b128 v[4:7], v[4:5], off
	v_mov_b32_e32 v11, 0
	v_mov_b32_e32 v12, 0
	s_delay_alu instid0(VALU_DEP_1) | instskip(SKIP_4) | instid1(VALU_DEP_1)
	v_dual_mov_b32 v14, v12 :: v_dual_mov_b32 v13, v11
	s_waitcnt vmcnt(3)
	v_cmp_lt_i32_e32 vcc_lo, v16, v15
	s_waitcnt vmcnt(2)
	v_cmp_lt_i32_e64 s0, v18, v17
	s_and_b32 s0, vcc_lo, s0
	s_delay_alu instid0(SALU_CYCLE_1)
	s_and_saveexec_b32 s27, s0
	s_cbranch_execz .LBB70_10
; %bb.5:                                ;   in Loop: Header=BB70_3 Depth=1
	v_mov_b32_e32 v11, 0
	v_mov_b32_e32 v12, 0
	v_subrev_nc_u32_e32 v23, s1, v17
	v_subrev_nc_u32_e32 v24, s1, v15
	;; [unrolled: 1-line block ×4, first 2 shown]
	v_dual_mov_b32 v14, v12 :: v_dual_mov_b32 v13, v11
	s_mov_b32 s28, 0
	s_branch .LBB70_7
.LBB70_6:                               ;   in Loop: Header=BB70_7 Depth=2
	s_or_b32 exec_lo, exec_lo, s0
	v_cmp_le_i32_e32 vcc_lo, v16, v25
	v_add_co_ci_u32_e32 v17, vcc_lo, 0, v17, vcc_lo
	v_cmp_ge_i32_e32 vcc_lo, v16, v25
	v_add_co_ci_u32_e32 v15, vcc_lo, 0, v15, vcc_lo
	s_delay_alu instid0(VALU_DEP_3) | instskip(NEXT) | instid1(VALU_DEP_2)
	v_cmp_ge_i32_e32 vcc_lo, v17, v24
	v_cmp_ge_i32_e64 s0, v15, v23
	s_delay_alu instid0(VALU_DEP_1) | instskip(NEXT) | instid1(SALU_CYCLE_1)
	s_or_b32 s0, vcc_lo, s0
	s_and_b32 s0, exec_lo, s0
	s_delay_alu instid0(SALU_CYCLE_1) | instskip(NEXT) | instid1(SALU_CYCLE_1)
	s_or_b32 s28, s0, s28
	s_and_not1_b32 exec_lo, exec_lo, s28
	s_cbranch_execz .LBB70_9
.LBB70_7:                               ;   Parent Loop BB70_3 Depth=1
                                        ; =>  This Inner Loop Header: Depth=2
	s_delay_alu instid0(VALU_DEP_2) | instskip(SKIP_2) | instid1(VALU_DEP_2)
	v_ashrrev_i32_e32 v18, 31, v17
	v_ashrrev_i32_e32 v16, 31, v15
	s_mov_b32 s0, exec_lo
	v_lshlrev_b64 v[25:26], 2, v[17:18]
	s_delay_alu instid0(VALU_DEP_2) | instskip(NEXT) | instid1(VALU_DEP_2)
	v_lshlrev_b64 v[19:20], 2, v[15:16]
	v_add_co_u32 v25, vcc_lo, s16, v25
	s_delay_alu instid0(VALU_DEP_3) | instskip(NEXT) | instid1(VALU_DEP_3)
	v_add_co_ci_u32_e32 v26, vcc_lo, s17, v26, vcc_lo
	v_add_co_u32 v27, vcc_lo, s6, v19
	s_delay_alu instid0(VALU_DEP_4)
	v_add_co_ci_u32_e32 v28, vcc_lo, s7, v20, vcc_lo
	global_load_b32 v16, v[25:26], off
	global_load_b32 v25, v[27:28], off
	s_waitcnt vmcnt(0)
	v_cmpx_eq_u32_e64 v16, v25
	s_cbranch_execz .LBB70_6
; %bb.8:                                ;   in Loop: Header=BB70_7 Depth=2
	v_add_co_u32 v19, vcc_lo, s8, v19
	v_add_co_ci_u32_e32 v20, vcc_lo, s9, v20, vcc_lo
	v_lshlrev_b64 v[26:27], 4, v[17:18]
	global_load_b32 v19, v[19:20], off
	v_add_co_u32 v26, vcc_lo, s10, v26
	v_add_co_ci_u32_e32 v27, vcc_lo, s11, v27, vcc_lo
	s_waitcnt vmcnt(0)
	v_ashrrev_i32_e32 v20, 31, v19
	s_delay_alu instid0(VALU_DEP_1) | instskip(NEXT) | instid1(VALU_DEP_1)
	v_lshlrev_b64 v[18:19], 4, v[19:20]
	v_add_co_u32 v18, vcc_lo, s10, v18
	s_delay_alu instid0(VALU_DEP_2)
	v_add_co_ci_u32_e32 v19, vcc_lo, s11, v19, vcc_lo
	s_clause 0x1
	global_load_b128 v[26:29], v[26:27], off
	global_load_b128 v[30:33], v[18:19], off
	s_waitcnt vmcnt(0)
	v_fma_f64 v[11:12], v[26:27], v[30:31], v[11:12]
	v_fma_f64 v[13:14], v[28:29], v[30:31], v[13:14]
	s_delay_alu instid0(VALU_DEP_2) | instskip(NEXT) | instid1(VALU_DEP_2)
	v_fma_f64 v[11:12], -v[28:29], v[32:33], v[11:12]
	v_fma_f64 v[13:14], v[26:27], v[32:33], v[13:14]
	s_branch .LBB70_6
.LBB70_9:                               ;   in Loop: Header=BB70_3 Depth=1
	s_or_b32 exec_lo, exec_lo, s28
.LBB70_10:                              ;   in Loop: Header=BB70_3 Depth=1
	s_delay_alu instid0(SALU_CYCLE_1)
	s_or_b32 exec_lo, exec_lo, s27
	s_waitcnt vmcnt(1)
	v_add_f64 v[0:1], v[0:1], -v[11:12]
	v_add_f64 v[2:3], v[2:3], -v[13:14]
	s_mov_b32 s0, exec_lo
	v_cmpx_gt_i32_e64 v22, v21
	s_cbranch_execz .LBB70_12
; %bb.11:                               ;   in Loop: Header=BB70_3 Depth=1
	s_waitcnt vmcnt(0)
	v_mul_f64 v[11:12], v[6:7], v[6:7]
	s_delay_alu instid0(VALU_DEP_1) | instskip(NEXT) | instid1(VALU_DEP_1)
	v_fma_f64 v[11:12], v[4:5], v[4:5], v[11:12]
	v_div_scale_f64 v[13:14], null, v[11:12], v[11:12], 1.0
	v_div_scale_f64 v[19:20], vcc_lo, 1.0, v[11:12], 1.0
	s_delay_alu instid0(VALU_DEP_2) | instskip(SKIP_2) | instid1(VALU_DEP_1)
	v_rcp_f64_e32 v[15:16], v[13:14]
	s_waitcnt_depctr 0xfff
	v_fma_f64 v[17:18], -v[13:14], v[15:16], 1.0
	v_fma_f64 v[15:16], v[15:16], v[17:18], v[15:16]
	s_delay_alu instid0(VALU_DEP_1) | instskip(NEXT) | instid1(VALU_DEP_1)
	v_fma_f64 v[17:18], -v[13:14], v[15:16], 1.0
	v_fma_f64 v[15:16], v[15:16], v[17:18], v[15:16]
	s_delay_alu instid0(VALU_DEP_1) | instskip(NEXT) | instid1(VALU_DEP_1)
	v_mul_f64 v[17:18], v[19:20], v[15:16]
	v_fma_f64 v[13:14], -v[13:14], v[17:18], v[19:20]
	s_delay_alu instid0(VALU_DEP_1) | instskip(SKIP_2) | instid1(VALU_DEP_3)
	v_div_fmas_f64 v[13:14], v[13:14], v[15:16], v[17:18]
	v_mul_f64 v[15:16], v[6:7], v[2:3]
	v_mul_f64 v[6:7], v[6:7], -v[0:1]
	v_div_fixup_f64 v[11:12], v[13:14], v[11:12], 1.0
	s_delay_alu instid0(VALU_DEP_3) | instskip(NEXT) | instid1(VALU_DEP_3)
	v_fma_f64 v[0:1], v[0:1], v[4:5], v[15:16]
	v_fma_f64 v[2:3], v[2:3], v[4:5], v[6:7]
	s_delay_alu instid0(VALU_DEP_2) | instskip(NEXT) | instid1(VALU_DEP_2)
	v_mul_f64 v[0:1], v[11:12], v[0:1]
	v_mul_f64 v[2:3], v[11:12], v[2:3]
.LBB70_12:                              ;   in Loop: Header=BB70_3 Depth=1
	s_or_b32 exec_lo, exec_lo, s0
	s_delay_alu instid0(VALU_DEP_2) | instskip(NEXT) | instid1(VALU_DEP_2)
	v_cmp_gt_f64_e32 vcc_lo, 0, v[0:1]
	v_cmp_gt_f64_e64 s0, 0, v[2:3]
	s_waitcnt vmcnt(0)
	v_xor_b32_e32 v4, 0x80000000, v1
	v_xor_b32_e32 v6, 0x80000000, v3
                                        ; implicit-def: $vgpr11_vgpr12
	s_delay_alu instid0(VALU_DEP_2) | instskip(NEXT) | instid1(VALU_DEP_2)
	v_cndmask_b32_e32 v5, v1, v4, vcc_lo
	v_cndmask_b32_e64 v7, v3, v6, s0
	v_cndmask_b32_e32 v4, v0, v0, vcc_lo
	v_cndmask_b32_e64 v6, v2, v2, s0
	s_mov_b32 s0, exec_lo
	s_delay_alu instid0(VALU_DEP_1)
	v_cmpx_ngt_f64_e32 v[4:5], v[6:7]
	s_xor_b32 s0, exec_lo, s0
	s_cbranch_execnz .LBB70_15
; %bb.13:                               ;   in Loop: Header=BB70_3 Depth=1
	s_and_not1_saveexec_b32 s0, s0
	s_cbranch_execnz .LBB70_18
.LBB70_14:                              ;   in Loop: Header=BB70_3 Depth=1
	s_or_b32 exec_lo, exec_lo, s0
	s_delay_alu instid0(VALU_DEP_1) | instskip(NEXT) | instid1(VALU_DEP_1)
	v_cmp_class_f64_e64 s0, v[11:12], 0x1f8
	s_and_b32 exec_lo, exec_lo, s0
	s_cbranch_execz .LBB70_2
	s_branch .LBB70_19
.LBB70_15:                              ;   in Loop: Header=BB70_3 Depth=1
	v_mov_b32_e32 v11, 0
	v_mov_b32_e32 v12, 0
	s_mov_b32 s27, exec_lo
	v_cmpx_neq_f64_e32 0, v[2:3]
	s_cbranch_execz .LBB70_17
; %bb.16:                               ;   in Loop: Header=BB70_3 Depth=1
	v_div_scale_f64 v[11:12], null, v[6:7], v[6:7], v[4:5]
	v_div_scale_f64 v[17:18], vcc_lo, v[4:5], v[6:7], v[4:5]
	s_delay_alu instid0(VALU_DEP_2) | instskip(SKIP_2) | instid1(VALU_DEP_1)
	v_rcp_f64_e32 v[13:14], v[11:12]
	s_waitcnt_depctr 0xfff
	v_fma_f64 v[15:16], -v[11:12], v[13:14], 1.0
	v_fma_f64 v[13:14], v[13:14], v[15:16], v[13:14]
	s_delay_alu instid0(VALU_DEP_1) | instskip(NEXT) | instid1(VALU_DEP_1)
	v_fma_f64 v[15:16], -v[11:12], v[13:14], 1.0
	v_fma_f64 v[13:14], v[13:14], v[15:16], v[13:14]
	s_delay_alu instid0(VALU_DEP_1) | instskip(NEXT) | instid1(VALU_DEP_1)
	v_mul_f64 v[15:16], v[17:18], v[13:14]
	v_fma_f64 v[11:12], -v[11:12], v[15:16], v[17:18]
	s_delay_alu instid0(VALU_DEP_1) | instskip(NEXT) | instid1(VALU_DEP_1)
	v_div_fmas_f64 v[11:12], v[11:12], v[13:14], v[15:16]
	v_div_fixup_f64 v[4:5], v[11:12], v[6:7], v[4:5]
	s_delay_alu instid0(VALU_DEP_1) | instskip(NEXT) | instid1(VALU_DEP_1)
	v_fma_f64 v[4:5], v[4:5], v[4:5], 1.0
	v_cmp_gt_f64_e32 vcc_lo, 0x10000000, v[4:5]
	v_cndmask_b32_e64 v11, 0, 1, vcc_lo
	s_delay_alu instid0(VALU_DEP_1) | instskip(NEXT) | instid1(VALU_DEP_1)
	v_lshlrev_b32_e32 v11, 8, v11
	v_ldexp_f64 v[4:5], v[4:5], v11
	s_delay_alu instid0(VALU_DEP_1) | instskip(SKIP_3) | instid1(VALU_DEP_1)
	v_rsq_f64_e32 v[11:12], v[4:5]
	s_waitcnt_depctr 0xfff
	v_mul_f64 v[13:14], v[4:5], v[11:12]
	v_mul_f64 v[11:12], v[11:12], 0.5
	v_fma_f64 v[15:16], -v[11:12], v[13:14], 0.5
	s_delay_alu instid0(VALU_DEP_1) | instskip(SKIP_1) | instid1(VALU_DEP_2)
	v_fma_f64 v[13:14], v[13:14], v[15:16], v[13:14]
	v_fma_f64 v[11:12], v[11:12], v[15:16], v[11:12]
	v_fma_f64 v[15:16], -v[13:14], v[13:14], v[4:5]
	s_delay_alu instid0(VALU_DEP_1) | instskip(NEXT) | instid1(VALU_DEP_1)
	v_fma_f64 v[13:14], v[15:16], v[11:12], v[13:14]
	v_fma_f64 v[15:16], -v[13:14], v[13:14], v[4:5]
	s_delay_alu instid0(VALU_DEP_1) | instskip(SKIP_2) | instid1(VALU_DEP_2)
	v_fma_f64 v[11:12], v[15:16], v[11:12], v[13:14]
	v_cndmask_b32_e64 v13, 0, 0xffffff80, vcc_lo
	v_cmp_class_f64_e64 vcc_lo, v[4:5], 0x260
	v_ldexp_f64 v[11:12], v[11:12], v13
	s_delay_alu instid0(VALU_DEP_1) | instskip(NEXT) | instid1(VALU_DEP_1)
	v_dual_cndmask_b32 v5, v12, v5 :: v_dual_cndmask_b32 v4, v11, v4
	v_mul_f64 v[11:12], v[6:7], v[4:5]
.LBB70_17:                              ;   in Loop: Header=BB70_3 Depth=1
	s_or_b32 exec_lo, exec_lo, s27
                                        ; implicit-def: $vgpr4_vgpr5
                                        ; implicit-def: $vgpr6_vgpr7
	s_and_not1_saveexec_b32 s0, s0
	s_cbranch_execz .LBB70_14
.LBB70_18:                              ;   in Loop: Header=BB70_3 Depth=1
	v_div_scale_f64 v[11:12], null, v[4:5], v[4:5], v[6:7]
	v_div_scale_f64 v[17:18], vcc_lo, v[6:7], v[4:5], v[6:7]
	s_delay_alu instid0(VALU_DEP_2) | instskip(SKIP_2) | instid1(VALU_DEP_1)
	v_rcp_f64_e32 v[13:14], v[11:12]
	s_waitcnt_depctr 0xfff
	v_fma_f64 v[15:16], -v[11:12], v[13:14], 1.0
	v_fma_f64 v[13:14], v[13:14], v[15:16], v[13:14]
	s_delay_alu instid0(VALU_DEP_1) | instskip(NEXT) | instid1(VALU_DEP_1)
	v_fma_f64 v[15:16], -v[11:12], v[13:14], 1.0
	v_fma_f64 v[13:14], v[13:14], v[15:16], v[13:14]
	s_delay_alu instid0(VALU_DEP_1) | instskip(NEXT) | instid1(VALU_DEP_1)
	v_mul_f64 v[15:16], v[17:18], v[13:14]
	v_fma_f64 v[11:12], -v[11:12], v[15:16], v[17:18]
	s_delay_alu instid0(VALU_DEP_1) | instskip(NEXT) | instid1(VALU_DEP_1)
	v_div_fmas_f64 v[11:12], v[11:12], v[13:14], v[15:16]
	v_div_fixup_f64 v[6:7], v[11:12], v[4:5], v[6:7]
	s_delay_alu instid0(VALU_DEP_1) | instskip(NEXT) | instid1(VALU_DEP_1)
	v_fma_f64 v[6:7], v[6:7], v[6:7], 1.0
	v_cmp_gt_f64_e32 vcc_lo, 0x10000000, v[6:7]
	v_cndmask_b32_e64 v11, 0, 1, vcc_lo
	s_delay_alu instid0(VALU_DEP_1) | instskip(NEXT) | instid1(VALU_DEP_1)
	v_lshlrev_b32_e32 v11, 8, v11
	v_ldexp_f64 v[6:7], v[6:7], v11
	s_delay_alu instid0(VALU_DEP_1) | instskip(SKIP_3) | instid1(VALU_DEP_1)
	v_rsq_f64_e32 v[11:12], v[6:7]
	s_waitcnt_depctr 0xfff
	v_mul_f64 v[13:14], v[6:7], v[11:12]
	v_mul_f64 v[11:12], v[11:12], 0.5
	v_fma_f64 v[15:16], -v[11:12], v[13:14], 0.5
	s_delay_alu instid0(VALU_DEP_1) | instskip(SKIP_1) | instid1(VALU_DEP_2)
	v_fma_f64 v[13:14], v[13:14], v[15:16], v[13:14]
	v_fma_f64 v[11:12], v[11:12], v[15:16], v[11:12]
	v_fma_f64 v[15:16], -v[13:14], v[13:14], v[6:7]
	s_delay_alu instid0(VALU_DEP_1) | instskip(NEXT) | instid1(VALU_DEP_1)
	v_fma_f64 v[13:14], v[15:16], v[11:12], v[13:14]
	v_fma_f64 v[15:16], -v[13:14], v[13:14], v[6:7]
	s_delay_alu instid0(VALU_DEP_1) | instskip(SKIP_2) | instid1(VALU_DEP_2)
	v_fma_f64 v[11:12], v[15:16], v[11:12], v[13:14]
	v_cndmask_b32_e64 v13, 0, 0xffffff80, vcc_lo
	v_cmp_class_f64_e64 vcc_lo, v[6:7], 0x260
	v_ldexp_f64 v[11:12], v[11:12], v13
	s_delay_alu instid0(VALU_DEP_1) | instskip(NEXT) | instid1(VALU_DEP_1)
	v_dual_cndmask_b32 v7, v12, v7 :: v_dual_cndmask_b32 v6, v11, v6
	v_mul_f64 v[11:12], v[4:5], v[6:7]
	s_or_b32 exec_lo, exec_lo, s0
	s_delay_alu instid0(VALU_DEP_1) | instskip(NEXT) | instid1(VALU_DEP_1)
	v_cmp_class_f64_e64 s0, v[11:12], 0x1f8
	s_and_b32 exec_lo, exec_lo, s0
	s_cbranch_execz .LBB70_2
.LBB70_19:                              ;   in Loop: Header=BB70_3 Depth=1
	v_add_co_u32 v4, vcc_lo, s10, v9
	v_add_co_ci_u32_e32 v5, vcc_lo, s11, v10, vcc_lo
	global_store_b128 v[4:5], v[0:3], off
	s_branch .LBB70_2
.LBB70_20:
	s_nop 0
	s_sendmsg sendmsg(MSG_DEALLOC_VGPRS)
	s_endpgm
	.section	.rodata,"a",@progbits
	.p2align	6, 0x0
	.amdhsa_kernel _ZN9rocsparseL20kernel_calculate_cooILi1024ELi32ELb0E21rocsparse_complex_numIdEiiEEvT4_T3_PKS3_S6_PKT2_21rocsparse_index_base_PKS4_SC_S6_SC_SC_S6_SC_PS7_PNS_15floating_traitsIS7_E6data_tEPKSG_
		.amdhsa_group_segment_fixed_size 0
		.amdhsa_private_segment_fixed_size 0
		.amdhsa_kernarg_size 120
		.amdhsa_user_sgpr_count 15
		.amdhsa_user_sgpr_dispatch_ptr 0
		.amdhsa_user_sgpr_queue_ptr 0
		.amdhsa_user_sgpr_kernarg_segment_ptr 1
		.amdhsa_user_sgpr_dispatch_id 0
		.amdhsa_user_sgpr_private_segment_size 0
		.amdhsa_wavefront_size32 1
		.amdhsa_uses_dynamic_stack 0
		.amdhsa_enable_private_segment 0
		.amdhsa_system_sgpr_workgroup_id_x 1
		.amdhsa_system_sgpr_workgroup_id_y 0
		.amdhsa_system_sgpr_workgroup_id_z 0
		.amdhsa_system_sgpr_workgroup_info 0
		.amdhsa_system_vgpr_workitem_id 0
		.amdhsa_next_free_vgpr 34
		.amdhsa_next_free_sgpr 29
		.amdhsa_reserve_vcc 1
		.amdhsa_float_round_mode_32 0
		.amdhsa_float_round_mode_16_64 0
		.amdhsa_float_denorm_mode_32 3
		.amdhsa_float_denorm_mode_16_64 3
		.amdhsa_dx10_clamp 1
		.amdhsa_ieee_mode 1
		.amdhsa_fp16_overflow 0
		.amdhsa_workgroup_processor_mode 1
		.amdhsa_memory_ordered 1
		.amdhsa_forward_progress 0
		.amdhsa_shared_vgpr_count 0
		.amdhsa_exception_fp_ieee_invalid_op 0
		.amdhsa_exception_fp_denorm_src 0
		.amdhsa_exception_fp_ieee_div_zero 0
		.amdhsa_exception_fp_ieee_overflow 0
		.amdhsa_exception_fp_ieee_underflow 0
		.amdhsa_exception_fp_ieee_inexact 0
		.amdhsa_exception_int_div_zero 0
	.end_amdhsa_kernel
	.section	.text._ZN9rocsparseL20kernel_calculate_cooILi1024ELi32ELb0E21rocsparse_complex_numIdEiiEEvT4_T3_PKS3_S6_PKT2_21rocsparse_index_base_PKS4_SC_S6_SC_SC_S6_SC_PS7_PNS_15floating_traitsIS7_E6data_tEPKSG_,"axG",@progbits,_ZN9rocsparseL20kernel_calculate_cooILi1024ELi32ELb0E21rocsparse_complex_numIdEiiEEvT4_T3_PKS3_S6_PKT2_21rocsparse_index_base_PKS4_SC_S6_SC_SC_S6_SC_PS7_PNS_15floating_traitsIS7_E6data_tEPKSG_,comdat
.Lfunc_end70:
	.size	_ZN9rocsparseL20kernel_calculate_cooILi1024ELi32ELb0E21rocsparse_complex_numIdEiiEEvT4_T3_PKS3_S6_PKT2_21rocsparse_index_base_PKS4_SC_S6_SC_SC_S6_SC_PS7_PNS_15floating_traitsIS7_E6data_tEPKSG_, .Lfunc_end70-_ZN9rocsparseL20kernel_calculate_cooILi1024ELi32ELb0E21rocsparse_complex_numIdEiiEEvT4_T3_PKS3_S6_PKT2_21rocsparse_index_base_PKS4_SC_S6_SC_SC_S6_SC_PS7_PNS_15floating_traitsIS7_E6data_tEPKSG_
                                        ; -- End function
	.section	.AMDGPU.csdata,"",@progbits
; Kernel info:
; codeLenInByte = 1880
; NumSgprs: 31
; NumVgprs: 34
; ScratchSize: 0
; MemoryBound: 1
; FloatMode: 240
; IeeeMode: 1
; LDSByteSize: 0 bytes/workgroup (compile time only)
; SGPRBlocks: 3
; VGPRBlocks: 4
; NumSGPRsForWavesPerEU: 31
; NumVGPRsForWavesPerEU: 34
; Occupancy: 16
; WaveLimiterHint : 1
; COMPUTE_PGM_RSRC2:SCRATCH_EN: 0
; COMPUTE_PGM_RSRC2:USER_SGPR: 15
; COMPUTE_PGM_RSRC2:TRAP_HANDLER: 0
; COMPUTE_PGM_RSRC2:TGID_X_EN: 1
; COMPUTE_PGM_RSRC2:TGID_Y_EN: 0
; COMPUTE_PGM_RSRC2:TGID_Z_EN: 0
; COMPUTE_PGM_RSRC2:TIDIG_COMP_CNT: 0
	.section	.text._ZN9rocsparseL20kernel_calculate_cooILi1024ELi64ELb0E21rocsparse_complex_numIdEiiEEvT4_T3_PKS3_S6_PKT2_21rocsparse_index_base_PKS4_SC_S6_SC_SC_S6_SC_PS7_PNS_15floating_traitsIS7_E6data_tEPKSG_,"axG",@progbits,_ZN9rocsparseL20kernel_calculate_cooILi1024ELi64ELb0E21rocsparse_complex_numIdEiiEEvT4_T3_PKS3_S6_PKT2_21rocsparse_index_base_PKS4_SC_S6_SC_SC_S6_SC_PS7_PNS_15floating_traitsIS7_E6data_tEPKSG_,comdat
	.globl	_ZN9rocsparseL20kernel_calculate_cooILi1024ELi64ELb0E21rocsparse_complex_numIdEiiEEvT4_T3_PKS3_S6_PKT2_21rocsparse_index_base_PKS4_SC_S6_SC_SC_S6_SC_PS7_PNS_15floating_traitsIS7_E6data_tEPKSG_ ; -- Begin function _ZN9rocsparseL20kernel_calculate_cooILi1024ELi64ELb0E21rocsparse_complex_numIdEiiEEvT4_T3_PKS3_S6_PKT2_21rocsparse_index_base_PKS4_SC_S6_SC_SC_S6_SC_PS7_PNS_15floating_traitsIS7_E6data_tEPKSG_
	.p2align	8
	.type	_ZN9rocsparseL20kernel_calculate_cooILi1024ELi64ELb0E21rocsparse_complex_numIdEiiEEvT4_T3_PKS3_S6_PKT2_21rocsparse_index_base_PKS4_SC_S6_SC_SC_S6_SC_PS7_PNS_15floating_traitsIS7_E6data_tEPKSG_,@function
_ZN9rocsparseL20kernel_calculate_cooILi1024ELi64ELb0E21rocsparse_complex_numIdEiiEEvT4_T3_PKS3_S6_PKT2_21rocsparse_index_base_PKS4_SC_S6_SC_SC_S6_SC_PS7_PNS_15floating_traitsIS7_E6data_tEPKSG_: ; @_ZN9rocsparseL20kernel_calculate_cooILi1024ELi64ELb0E21rocsparse_complex_numIdEiiEEvT4_T3_PKS3_S6_PKT2_21rocsparse_index_base_PKS4_SC_S6_SC_SC_S6_SC_PS7_PNS_15floating_traitsIS7_E6data_tEPKSG_
; %bb.0:
	s_load_b32 s24, s[0:1], 0x4
	v_lshl_or_b32 v8, s15, 16, v0
	s_mov_b32 s2, exec_lo
	s_waitcnt lgkmcnt(0)
	s_delay_alu instid0(VALU_DEP_1)
	v_cmpx_gt_i32_e64 s24, v8
	s_cbranch_execz .LBB71_20
; %bb.1:
	s_clause 0x4
	s_load_b256 s[4:11], s[0:1], 0x48
	s_load_b128 s[20:23], s[0:1], 0x8
	s_load_b64 s[2:3], s[0:1], 0x18
	s_load_b256 s[12:19], s[0:1], 0x28
	s_load_b32 s1, s[0:1], 0x20
	s_mov_b32 s25, 0
	s_branch .LBB71_3
.LBB71_2:                               ;   in Loop: Header=BB71_3 Depth=1
	s_or_b32 exec_lo, exec_lo, s26
	v_add_nc_u32_e32 v8, 0x400, v8
	s_add_i32 s25, s25, 1
	s_delay_alu instid0(SALU_CYCLE_1)
	s_cmp_lg_u32 s25, 64
	s_cbranch_scc0 .LBB71_20
.LBB71_3:                               ; =>This Loop Header: Depth=1
                                        ;     Child Loop BB71_7 Depth 2
	s_mov_b32 s26, exec_lo
	v_cmpx_gt_i32_e64 s24, v8
	s_cbranch_execz .LBB71_2
; %bb.4:                                ;   in Loop: Header=BB71_3 Depth=1
	v_ashrrev_i32_e32 v9, 31, v8
	s_delay_alu instid0(VALU_DEP_1) | instskip(SKIP_2) | instid1(VALU_DEP_2)
	v_lshlrev_b64 v[0:1], 2, v[8:9]
	v_lshlrev_b64 v[9:10], 4, v[8:9]
	s_waitcnt lgkmcnt(0)
	v_add_co_u32 v2, vcc_lo, s22, v0
	s_delay_alu instid0(VALU_DEP_3)
	v_add_co_ci_u32_e32 v3, vcc_lo, s23, v1, vcc_lo
	v_add_co_u32 v0, vcc_lo, s20, v0
	v_add_co_ci_u32_e32 v1, vcc_lo, s21, v1, vcc_lo
	global_load_b32 v21, v[2:3], off
	global_load_b32 v22, v[0:1], off
	s_waitcnt vmcnt(1)
	v_subrev_nc_u32_e32 v0, s1, v21
	s_delay_alu instid0(VALU_DEP_1) | instskip(NEXT) | instid1(VALU_DEP_1)
	v_ashrrev_i32_e32 v1, 31, v0
	v_lshlrev_b64 v[0:1], 2, v[0:1]
	s_delay_alu instid0(VALU_DEP_1) | instskip(NEXT) | instid1(VALU_DEP_2)
	v_add_co_u32 v2, vcc_lo, s14, v0
	v_add_co_ci_u32_e32 v3, vcc_lo, s15, v1, vcc_lo
	global_load_b32 v6, v[2:3], off
	s_waitcnt vmcnt(1)
	v_subrev_nc_u32_e32 v2, s1, v22
	s_delay_alu instid0(VALU_DEP_1) | instskip(NEXT) | instid1(VALU_DEP_1)
	v_ashrrev_i32_e32 v3, 31, v2
	v_lshlrev_b64 v[2:3], 2, v[2:3]
	s_delay_alu instid0(VALU_DEP_1) | instskip(NEXT) | instid1(VALU_DEP_2)
	v_add_co_u32 v4, vcc_lo, s14, v2
	v_add_co_ci_u32_e32 v5, vcc_lo, s15, v3, vcc_lo
	global_load_b32 v15, v[4:5], off
	v_add_co_u32 v4, vcc_lo, s4, v0
	v_add_co_ci_u32_e32 v5, vcc_lo, s5, v1, vcc_lo
	v_add_co_u32 v2, vcc_lo, s12, v2
	v_add_co_ci_u32_e32 v3, vcc_lo, s13, v3, vcc_lo
	;; [unrolled: 2-line block ×4, first 2 shown]
	global_load_b32 v17, v[4:5], off
	global_load_b32 v16, v[2:3], off
	;; [unrolled: 1-line block ×3, first 2 shown]
	s_waitcnt vmcnt(4)
	v_subrev_nc_u32_e32 v6, s1, v6
	s_delay_alu instid0(VALU_DEP_1) | instskip(NEXT) | instid1(VALU_DEP_1)
	v_ashrrev_i32_e32 v7, 31, v6
	v_lshlrev_b64 v[6:7], 4, v[6:7]
	s_delay_alu instid0(VALU_DEP_1) | instskip(NEXT) | instid1(VALU_DEP_2)
	v_add_co_u32 v4, vcc_lo, s10, v6
	v_add_co_ci_u32_e32 v5, vcc_lo, s11, v7, vcc_lo
	global_load_b128 v[0:3], v[11:12], off
	global_load_b128 v[4:7], v[4:5], off
	v_mov_b32_e32 v11, 0
	v_mov_b32_e32 v12, 0
	s_delay_alu instid0(VALU_DEP_1) | instskip(SKIP_4) | instid1(VALU_DEP_1)
	v_dual_mov_b32 v14, v12 :: v_dual_mov_b32 v13, v11
	s_waitcnt vmcnt(3)
	v_cmp_lt_i32_e32 vcc_lo, v16, v15
	s_waitcnt vmcnt(2)
	v_cmp_lt_i32_e64 s0, v18, v17
	s_and_b32 s0, vcc_lo, s0
	s_delay_alu instid0(SALU_CYCLE_1)
	s_and_saveexec_b32 s27, s0
	s_cbranch_execz .LBB71_10
; %bb.5:                                ;   in Loop: Header=BB71_3 Depth=1
	v_mov_b32_e32 v11, 0
	v_mov_b32_e32 v12, 0
	v_subrev_nc_u32_e32 v23, s1, v17
	v_subrev_nc_u32_e32 v24, s1, v15
	;; [unrolled: 1-line block ×4, first 2 shown]
	v_dual_mov_b32 v14, v12 :: v_dual_mov_b32 v13, v11
	s_mov_b32 s28, 0
	s_branch .LBB71_7
.LBB71_6:                               ;   in Loop: Header=BB71_7 Depth=2
	s_or_b32 exec_lo, exec_lo, s0
	v_cmp_le_i32_e32 vcc_lo, v16, v25
	v_add_co_ci_u32_e32 v17, vcc_lo, 0, v17, vcc_lo
	v_cmp_ge_i32_e32 vcc_lo, v16, v25
	v_add_co_ci_u32_e32 v15, vcc_lo, 0, v15, vcc_lo
	s_delay_alu instid0(VALU_DEP_3) | instskip(NEXT) | instid1(VALU_DEP_2)
	v_cmp_ge_i32_e32 vcc_lo, v17, v24
	v_cmp_ge_i32_e64 s0, v15, v23
	s_delay_alu instid0(VALU_DEP_1) | instskip(NEXT) | instid1(SALU_CYCLE_1)
	s_or_b32 s0, vcc_lo, s0
	s_and_b32 s0, exec_lo, s0
	s_delay_alu instid0(SALU_CYCLE_1) | instskip(NEXT) | instid1(SALU_CYCLE_1)
	s_or_b32 s28, s0, s28
	s_and_not1_b32 exec_lo, exec_lo, s28
	s_cbranch_execz .LBB71_9
.LBB71_7:                               ;   Parent Loop BB71_3 Depth=1
                                        ; =>  This Inner Loop Header: Depth=2
	s_delay_alu instid0(VALU_DEP_2) | instskip(SKIP_2) | instid1(VALU_DEP_2)
	v_ashrrev_i32_e32 v18, 31, v17
	v_ashrrev_i32_e32 v16, 31, v15
	s_mov_b32 s0, exec_lo
	v_lshlrev_b64 v[25:26], 2, v[17:18]
	s_delay_alu instid0(VALU_DEP_2) | instskip(NEXT) | instid1(VALU_DEP_2)
	v_lshlrev_b64 v[19:20], 2, v[15:16]
	v_add_co_u32 v25, vcc_lo, s16, v25
	s_delay_alu instid0(VALU_DEP_3) | instskip(NEXT) | instid1(VALU_DEP_3)
	v_add_co_ci_u32_e32 v26, vcc_lo, s17, v26, vcc_lo
	v_add_co_u32 v27, vcc_lo, s6, v19
	s_delay_alu instid0(VALU_DEP_4)
	v_add_co_ci_u32_e32 v28, vcc_lo, s7, v20, vcc_lo
	global_load_b32 v16, v[25:26], off
	global_load_b32 v25, v[27:28], off
	s_waitcnt vmcnt(0)
	v_cmpx_eq_u32_e64 v16, v25
	s_cbranch_execz .LBB71_6
; %bb.8:                                ;   in Loop: Header=BB71_7 Depth=2
	v_add_co_u32 v19, vcc_lo, s8, v19
	v_add_co_ci_u32_e32 v20, vcc_lo, s9, v20, vcc_lo
	v_lshlrev_b64 v[26:27], 4, v[17:18]
	global_load_b32 v19, v[19:20], off
	v_add_co_u32 v26, vcc_lo, s10, v26
	v_add_co_ci_u32_e32 v27, vcc_lo, s11, v27, vcc_lo
	s_waitcnt vmcnt(0)
	v_ashrrev_i32_e32 v20, 31, v19
	s_delay_alu instid0(VALU_DEP_1) | instskip(NEXT) | instid1(VALU_DEP_1)
	v_lshlrev_b64 v[18:19], 4, v[19:20]
	v_add_co_u32 v18, vcc_lo, s10, v18
	s_delay_alu instid0(VALU_DEP_2)
	v_add_co_ci_u32_e32 v19, vcc_lo, s11, v19, vcc_lo
	s_clause 0x1
	global_load_b128 v[26:29], v[26:27], off
	global_load_b128 v[30:33], v[18:19], off
	s_waitcnt vmcnt(0)
	v_fma_f64 v[11:12], v[26:27], v[30:31], v[11:12]
	v_fma_f64 v[13:14], v[28:29], v[30:31], v[13:14]
	s_delay_alu instid0(VALU_DEP_2) | instskip(NEXT) | instid1(VALU_DEP_2)
	v_fma_f64 v[11:12], -v[28:29], v[32:33], v[11:12]
	v_fma_f64 v[13:14], v[26:27], v[32:33], v[13:14]
	s_branch .LBB71_6
.LBB71_9:                               ;   in Loop: Header=BB71_3 Depth=1
	s_or_b32 exec_lo, exec_lo, s28
.LBB71_10:                              ;   in Loop: Header=BB71_3 Depth=1
	s_delay_alu instid0(SALU_CYCLE_1)
	s_or_b32 exec_lo, exec_lo, s27
	s_waitcnt vmcnt(1)
	v_add_f64 v[0:1], v[0:1], -v[11:12]
	v_add_f64 v[2:3], v[2:3], -v[13:14]
	s_mov_b32 s0, exec_lo
	v_cmpx_gt_i32_e64 v22, v21
	s_cbranch_execz .LBB71_12
; %bb.11:                               ;   in Loop: Header=BB71_3 Depth=1
	s_waitcnt vmcnt(0)
	v_mul_f64 v[11:12], v[6:7], v[6:7]
	s_delay_alu instid0(VALU_DEP_1) | instskip(NEXT) | instid1(VALU_DEP_1)
	v_fma_f64 v[11:12], v[4:5], v[4:5], v[11:12]
	v_div_scale_f64 v[13:14], null, v[11:12], v[11:12], 1.0
	v_div_scale_f64 v[19:20], vcc_lo, 1.0, v[11:12], 1.0
	s_delay_alu instid0(VALU_DEP_2) | instskip(SKIP_2) | instid1(VALU_DEP_1)
	v_rcp_f64_e32 v[15:16], v[13:14]
	s_waitcnt_depctr 0xfff
	v_fma_f64 v[17:18], -v[13:14], v[15:16], 1.0
	v_fma_f64 v[15:16], v[15:16], v[17:18], v[15:16]
	s_delay_alu instid0(VALU_DEP_1) | instskip(NEXT) | instid1(VALU_DEP_1)
	v_fma_f64 v[17:18], -v[13:14], v[15:16], 1.0
	v_fma_f64 v[15:16], v[15:16], v[17:18], v[15:16]
	s_delay_alu instid0(VALU_DEP_1) | instskip(NEXT) | instid1(VALU_DEP_1)
	v_mul_f64 v[17:18], v[19:20], v[15:16]
	v_fma_f64 v[13:14], -v[13:14], v[17:18], v[19:20]
	s_delay_alu instid0(VALU_DEP_1) | instskip(SKIP_2) | instid1(VALU_DEP_3)
	v_div_fmas_f64 v[13:14], v[13:14], v[15:16], v[17:18]
	v_mul_f64 v[15:16], v[6:7], v[2:3]
	v_mul_f64 v[6:7], v[6:7], -v[0:1]
	v_div_fixup_f64 v[11:12], v[13:14], v[11:12], 1.0
	s_delay_alu instid0(VALU_DEP_3) | instskip(NEXT) | instid1(VALU_DEP_3)
	v_fma_f64 v[0:1], v[0:1], v[4:5], v[15:16]
	v_fma_f64 v[2:3], v[2:3], v[4:5], v[6:7]
	s_delay_alu instid0(VALU_DEP_2) | instskip(NEXT) | instid1(VALU_DEP_2)
	v_mul_f64 v[0:1], v[11:12], v[0:1]
	v_mul_f64 v[2:3], v[11:12], v[2:3]
.LBB71_12:                              ;   in Loop: Header=BB71_3 Depth=1
	s_or_b32 exec_lo, exec_lo, s0
	s_delay_alu instid0(VALU_DEP_2) | instskip(NEXT) | instid1(VALU_DEP_2)
	v_cmp_gt_f64_e32 vcc_lo, 0, v[0:1]
	v_cmp_gt_f64_e64 s0, 0, v[2:3]
	s_waitcnt vmcnt(0)
	v_xor_b32_e32 v4, 0x80000000, v1
	v_xor_b32_e32 v6, 0x80000000, v3
                                        ; implicit-def: $vgpr11_vgpr12
	s_delay_alu instid0(VALU_DEP_2) | instskip(NEXT) | instid1(VALU_DEP_2)
	v_cndmask_b32_e32 v5, v1, v4, vcc_lo
	v_cndmask_b32_e64 v7, v3, v6, s0
	v_cndmask_b32_e32 v4, v0, v0, vcc_lo
	v_cndmask_b32_e64 v6, v2, v2, s0
	s_mov_b32 s0, exec_lo
	s_delay_alu instid0(VALU_DEP_1)
	v_cmpx_ngt_f64_e32 v[4:5], v[6:7]
	s_xor_b32 s0, exec_lo, s0
	s_cbranch_execnz .LBB71_15
; %bb.13:                               ;   in Loop: Header=BB71_3 Depth=1
	s_and_not1_saveexec_b32 s0, s0
	s_cbranch_execnz .LBB71_18
.LBB71_14:                              ;   in Loop: Header=BB71_3 Depth=1
	s_or_b32 exec_lo, exec_lo, s0
	s_delay_alu instid0(VALU_DEP_1) | instskip(NEXT) | instid1(VALU_DEP_1)
	v_cmp_class_f64_e64 s0, v[11:12], 0x1f8
	s_and_b32 exec_lo, exec_lo, s0
	s_cbranch_execz .LBB71_2
	s_branch .LBB71_19
.LBB71_15:                              ;   in Loop: Header=BB71_3 Depth=1
	v_mov_b32_e32 v11, 0
	v_mov_b32_e32 v12, 0
	s_mov_b32 s27, exec_lo
	v_cmpx_neq_f64_e32 0, v[2:3]
	s_cbranch_execz .LBB71_17
; %bb.16:                               ;   in Loop: Header=BB71_3 Depth=1
	v_div_scale_f64 v[11:12], null, v[6:7], v[6:7], v[4:5]
	v_div_scale_f64 v[17:18], vcc_lo, v[4:5], v[6:7], v[4:5]
	s_delay_alu instid0(VALU_DEP_2) | instskip(SKIP_2) | instid1(VALU_DEP_1)
	v_rcp_f64_e32 v[13:14], v[11:12]
	s_waitcnt_depctr 0xfff
	v_fma_f64 v[15:16], -v[11:12], v[13:14], 1.0
	v_fma_f64 v[13:14], v[13:14], v[15:16], v[13:14]
	s_delay_alu instid0(VALU_DEP_1) | instskip(NEXT) | instid1(VALU_DEP_1)
	v_fma_f64 v[15:16], -v[11:12], v[13:14], 1.0
	v_fma_f64 v[13:14], v[13:14], v[15:16], v[13:14]
	s_delay_alu instid0(VALU_DEP_1) | instskip(NEXT) | instid1(VALU_DEP_1)
	v_mul_f64 v[15:16], v[17:18], v[13:14]
	v_fma_f64 v[11:12], -v[11:12], v[15:16], v[17:18]
	s_delay_alu instid0(VALU_DEP_1) | instskip(NEXT) | instid1(VALU_DEP_1)
	v_div_fmas_f64 v[11:12], v[11:12], v[13:14], v[15:16]
	v_div_fixup_f64 v[4:5], v[11:12], v[6:7], v[4:5]
	s_delay_alu instid0(VALU_DEP_1) | instskip(NEXT) | instid1(VALU_DEP_1)
	v_fma_f64 v[4:5], v[4:5], v[4:5], 1.0
	v_cmp_gt_f64_e32 vcc_lo, 0x10000000, v[4:5]
	v_cndmask_b32_e64 v11, 0, 1, vcc_lo
	s_delay_alu instid0(VALU_DEP_1) | instskip(NEXT) | instid1(VALU_DEP_1)
	v_lshlrev_b32_e32 v11, 8, v11
	v_ldexp_f64 v[4:5], v[4:5], v11
	s_delay_alu instid0(VALU_DEP_1) | instskip(SKIP_3) | instid1(VALU_DEP_1)
	v_rsq_f64_e32 v[11:12], v[4:5]
	s_waitcnt_depctr 0xfff
	v_mul_f64 v[13:14], v[4:5], v[11:12]
	v_mul_f64 v[11:12], v[11:12], 0.5
	v_fma_f64 v[15:16], -v[11:12], v[13:14], 0.5
	s_delay_alu instid0(VALU_DEP_1) | instskip(SKIP_1) | instid1(VALU_DEP_2)
	v_fma_f64 v[13:14], v[13:14], v[15:16], v[13:14]
	v_fma_f64 v[11:12], v[11:12], v[15:16], v[11:12]
	v_fma_f64 v[15:16], -v[13:14], v[13:14], v[4:5]
	s_delay_alu instid0(VALU_DEP_1) | instskip(NEXT) | instid1(VALU_DEP_1)
	v_fma_f64 v[13:14], v[15:16], v[11:12], v[13:14]
	v_fma_f64 v[15:16], -v[13:14], v[13:14], v[4:5]
	s_delay_alu instid0(VALU_DEP_1) | instskip(SKIP_2) | instid1(VALU_DEP_2)
	v_fma_f64 v[11:12], v[15:16], v[11:12], v[13:14]
	v_cndmask_b32_e64 v13, 0, 0xffffff80, vcc_lo
	v_cmp_class_f64_e64 vcc_lo, v[4:5], 0x260
	v_ldexp_f64 v[11:12], v[11:12], v13
	s_delay_alu instid0(VALU_DEP_1) | instskip(NEXT) | instid1(VALU_DEP_1)
	v_dual_cndmask_b32 v5, v12, v5 :: v_dual_cndmask_b32 v4, v11, v4
	v_mul_f64 v[11:12], v[6:7], v[4:5]
.LBB71_17:                              ;   in Loop: Header=BB71_3 Depth=1
	s_or_b32 exec_lo, exec_lo, s27
                                        ; implicit-def: $vgpr4_vgpr5
                                        ; implicit-def: $vgpr6_vgpr7
	s_and_not1_saveexec_b32 s0, s0
	s_cbranch_execz .LBB71_14
.LBB71_18:                              ;   in Loop: Header=BB71_3 Depth=1
	v_div_scale_f64 v[11:12], null, v[4:5], v[4:5], v[6:7]
	v_div_scale_f64 v[17:18], vcc_lo, v[6:7], v[4:5], v[6:7]
	s_delay_alu instid0(VALU_DEP_2) | instskip(SKIP_2) | instid1(VALU_DEP_1)
	v_rcp_f64_e32 v[13:14], v[11:12]
	s_waitcnt_depctr 0xfff
	v_fma_f64 v[15:16], -v[11:12], v[13:14], 1.0
	v_fma_f64 v[13:14], v[13:14], v[15:16], v[13:14]
	s_delay_alu instid0(VALU_DEP_1) | instskip(NEXT) | instid1(VALU_DEP_1)
	v_fma_f64 v[15:16], -v[11:12], v[13:14], 1.0
	v_fma_f64 v[13:14], v[13:14], v[15:16], v[13:14]
	s_delay_alu instid0(VALU_DEP_1) | instskip(NEXT) | instid1(VALU_DEP_1)
	v_mul_f64 v[15:16], v[17:18], v[13:14]
	v_fma_f64 v[11:12], -v[11:12], v[15:16], v[17:18]
	s_delay_alu instid0(VALU_DEP_1) | instskip(NEXT) | instid1(VALU_DEP_1)
	v_div_fmas_f64 v[11:12], v[11:12], v[13:14], v[15:16]
	v_div_fixup_f64 v[6:7], v[11:12], v[4:5], v[6:7]
	s_delay_alu instid0(VALU_DEP_1) | instskip(NEXT) | instid1(VALU_DEP_1)
	v_fma_f64 v[6:7], v[6:7], v[6:7], 1.0
	v_cmp_gt_f64_e32 vcc_lo, 0x10000000, v[6:7]
	v_cndmask_b32_e64 v11, 0, 1, vcc_lo
	s_delay_alu instid0(VALU_DEP_1) | instskip(NEXT) | instid1(VALU_DEP_1)
	v_lshlrev_b32_e32 v11, 8, v11
	v_ldexp_f64 v[6:7], v[6:7], v11
	s_delay_alu instid0(VALU_DEP_1) | instskip(SKIP_3) | instid1(VALU_DEP_1)
	v_rsq_f64_e32 v[11:12], v[6:7]
	s_waitcnt_depctr 0xfff
	v_mul_f64 v[13:14], v[6:7], v[11:12]
	v_mul_f64 v[11:12], v[11:12], 0.5
	v_fma_f64 v[15:16], -v[11:12], v[13:14], 0.5
	s_delay_alu instid0(VALU_DEP_1) | instskip(SKIP_1) | instid1(VALU_DEP_2)
	v_fma_f64 v[13:14], v[13:14], v[15:16], v[13:14]
	v_fma_f64 v[11:12], v[11:12], v[15:16], v[11:12]
	v_fma_f64 v[15:16], -v[13:14], v[13:14], v[6:7]
	s_delay_alu instid0(VALU_DEP_1) | instskip(NEXT) | instid1(VALU_DEP_1)
	v_fma_f64 v[13:14], v[15:16], v[11:12], v[13:14]
	v_fma_f64 v[15:16], -v[13:14], v[13:14], v[6:7]
	s_delay_alu instid0(VALU_DEP_1) | instskip(SKIP_2) | instid1(VALU_DEP_2)
	v_fma_f64 v[11:12], v[15:16], v[11:12], v[13:14]
	v_cndmask_b32_e64 v13, 0, 0xffffff80, vcc_lo
	v_cmp_class_f64_e64 vcc_lo, v[6:7], 0x260
	v_ldexp_f64 v[11:12], v[11:12], v13
	s_delay_alu instid0(VALU_DEP_1) | instskip(NEXT) | instid1(VALU_DEP_1)
	v_dual_cndmask_b32 v7, v12, v7 :: v_dual_cndmask_b32 v6, v11, v6
	v_mul_f64 v[11:12], v[4:5], v[6:7]
	s_or_b32 exec_lo, exec_lo, s0
	s_delay_alu instid0(VALU_DEP_1) | instskip(NEXT) | instid1(VALU_DEP_1)
	v_cmp_class_f64_e64 s0, v[11:12], 0x1f8
	s_and_b32 exec_lo, exec_lo, s0
	s_cbranch_execz .LBB71_2
.LBB71_19:                              ;   in Loop: Header=BB71_3 Depth=1
	v_add_co_u32 v4, vcc_lo, s10, v9
	v_add_co_ci_u32_e32 v5, vcc_lo, s11, v10, vcc_lo
	global_store_b128 v[4:5], v[0:3], off
	s_branch .LBB71_2
.LBB71_20:
	s_nop 0
	s_sendmsg sendmsg(MSG_DEALLOC_VGPRS)
	s_endpgm
	.section	.rodata,"a",@progbits
	.p2align	6, 0x0
	.amdhsa_kernel _ZN9rocsparseL20kernel_calculate_cooILi1024ELi64ELb0E21rocsparse_complex_numIdEiiEEvT4_T3_PKS3_S6_PKT2_21rocsparse_index_base_PKS4_SC_S6_SC_SC_S6_SC_PS7_PNS_15floating_traitsIS7_E6data_tEPKSG_
		.amdhsa_group_segment_fixed_size 0
		.amdhsa_private_segment_fixed_size 0
		.amdhsa_kernarg_size 120
		.amdhsa_user_sgpr_count 15
		.amdhsa_user_sgpr_dispatch_ptr 0
		.amdhsa_user_sgpr_queue_ptr 0
		.amdhsa_user_sgpr_kernarg_segment_ptr 1
		.amdhsa_user_sgpr_dispatch_id 0
		.amdhsa_user_sgpr_private_segment_size 0
		.amdhsa_wavefront_size32 1
		.amdhsa_uses_dynamic_stack 0
		.amdhsa_enable_private_segment 0
		.amdhsa_system_sgpr_workgroup_id_x 1
		.amdhsa_system_sgpr_workgroup_id_y 0
		.amdhsa_system_sgpr_workgroup_id_z 0
		.amdhsa_system_sgpr_workgroup_info 0
		.amdhsa_system_vgpr_workitem_id 0
		.amdhsa_next_free_vgpr 34
		.amdhsa_next_free_sgpr 29
		.amdhsa_reserve_vcc 1
		.amdhsa_float_round_mode_32 0
		.amdhsa_float_round_mode_16_64 0
		.amdhsa_float_denorm_mode_32 3
		.amdhsa_float_denorm_mode_16_64 3
		.amdhsa_dx10_clamp 1
		.amdhsa_ieee_mode 1
		.amdhsa_fp16_overflow 0
		.amdhsa_workgroup_processor_mode 1
		.amdhsa_memory_ordered 1
		.amdhsa_forward_progress 0
		.amdhsa_shared_vgpr_count 0
		.amdhsa_exception_fp_ieee_invalid_op 0
		.amdhsa_exception_fp_denorm_src 0
		.amdhsa_exception_fp_ieee_div_zero 0
		.amdhsa_exception_fp_ieee_overflow 0
		.amdhsa_exception_fp_ieee_underflow 0
		.amdhsa_exception_fp_ieee_inexact 0
		.amdhsa_exception_int_div_zero 0
	.end_amdhsa_kernel
	.section	.text._ZN9rocsparseL20kernel_calculate_cooILi1024ELi64ELb0E21rocsparse_complex_numIdEiiEEvT4_T3_PKS3_S6_PKT2_21rocsparse_index_base_PKS4_SC_S6_SC_SC_S6_SC_PS7_PNS_15floating_traitsIS7_E6data_tEPKSG_,"axG",@progbits,_ZN9rocsparseL20kernel_calculate_cooILi1024ELi64ELb0E21rocsparse_complex_numIdEiiEEvT4_T3_PKS3_S6_PKT2_21rocsparse_index_base_PKS4_SC_S6_SC_SC_S6_SC_PS7_PNS_15floating_traitsIS7_E6data_tEPKSG_,comdat
.Lfunc_end71:
	.size	_ZN9rocsparseL20kernel_calculate_cooILi1024ELi64ELb0E21rocsparse_complex_numIdEiiEEvT4_T3_PKS3_S6_PKT2_21rocsparse_index_base_PKS4_SC_S6_SC_SC_S6_SC_PS7_PNS_15floating_traitsIS7_E6data_tEPKSG_, .Lfunc_end71-_ZN9rocsparseL20kernel_calculate_cooILi1024ELi64ELb0E21rocsparse_complex_numIdEiiEEvT4_T3_PKS3_S6_PKT2_21rocsparse_index_base_PKS4_SC_S6_SC_SC_S6_SC_PS7_PNS_15floating_traitsIS7_E6data_tEPKSG_
                                        ; -- End function
	.section	.AMDGPU.csdata,"",@progbits
; Kernel info:
; codeLenInByte = 1880
; NumSgprs: 31
; NumVgprs: 34
; ScratchSize: 0
; MemoryBound: 1
; FloatMode: 240
; IeeeMode: 1
; LDSByteSize: 0 bytes/workgroup (compile time only)
; SGPRBlocks: 3
; VGPRBlocks: 4
; NumSGPRsForWavesPerEU: 31
; NumVGPRsForWavesPerEU: 34
; Occupancy: 16
; WaveLimiterHint : 1
; COMPUTE_PGM_RSRC2:SCRATCH_EN: 0
; COMPUTE_PGM_RSRC2:USER_SGPR: 15
; COMPUTE_PGM_RSRC2:TRAP_HANDLER: 0
; COMPUTE_PGM_RSRC2:TGID_X_EN: 1
; COMPUTE_PGM_RSRC2:TGID_Y_EN: 0
; COMPUTE_PGM_RSRC2:TGID_Z_EN: 0
; COMPUTE_PGM_RSRC2:TIDIG_COMP_CNT: 0
	.section	.text._ZN9rocsparseL19kernel_compute_unnzILj1024ELj32EiiEEvT2_PKT1_S4_PKS1_21rocsparse_index_base_PS2_S8_,"axG",@progbits,_ZN9rocsparseL19kernel_compute_unnzILj1024ELj32EiiEEvT2_PKT1_S4_PKS1_21rocsparse_index_base_PS2_S8_,comdat
	.globl	_ZN9rocsparseL19kernel_compute_unnzILj1024ELj32EiiEEvT2_PKT1_S4_PKS1_21rocsparse_index_base_PS2_S8_ ; -- Begin function _ZN9rocsparseL19kernel_compute_unnzILj1024ELj32EiiEEvT2_PKT1_S4_PKS1_21rocsparse_index_base_PS2_S8_
	.p2align	8
	.type	_ZN9rocsparseL19kernel_compute_unnzILj1024ELj32EiiEEvT2_PKT1_S4_PKS1_21rocsparse_index_base_PS2_S8_,@function
_ZN9rocsparseL19kernel_compute_unnzILj1024ELj32EiiEEvT2_PKT1_S4_PKS1_21rocsparse_index_base_PS2_S8_: ; @_ZN9rocsparseL19kernel_compute_unnzILj1024ELj32EiiEEvT2_PKT1_S4_PKS1_21rocsparse_index_base_PS2_S8_
; %bb.0:
	s_clause 0x2
	s_load_b32 s2, s[0:1], 0x44
	s_load_b32 s3, s[0:1], 0x0
	s_load_b64 s[12:13], s[0:1], 0x30
	v_dual_mov_b32 v5, 0 :: v_dual_mov_b32 v6, 0
	s_waitcnt lgkmcnt(0)
	s_and_b32 s2, s2, 0xffff
	s_delay_alu instid0(SALU_CYCLE_1) | instskip(NEXT) | instid1(VALU_DEP_1)
	v_mad_u64_u32 v[1:2], null, s15, s2, v[0:1]
	v_cmp_gt_i32_e32 vcc_lo, s3, v1
	s_and_saveexec_b32 s3, vcc_lo
	s_cbranch_execz .LBB72_10
; %bb.1:
	s_load_b128 s[4:7], s[0:1], 0x8
	v_ashrrev_i32_e32 v2, 31, v1
	s_delay_alu instid0(VALU_DEP_1) | instskip(SKIP_1) | instid1(VALU_DEP_1)
	v_lshlrev_b64 v[2:3], 2, v[1:2]
	s_waitcnt lgkmcnt(0)
	v_add_co_u32 v4, vcc_lo, s4, v2
	s_delay_alu instid0(VALU_DEP_2)
	v_add_co_ci_u32_e32 v5, vcc_lo, s5, v3, vcc_lo
	v_add_co_u32 v6, vcc_lo, s6, v2
	v_add_co_ci_u32_e32 v7, vcc_lo, s7, v3, vcc_lo
	s_mov_b32 s5, 0
	global_load_b32 v2, v[4:5], off
	global_load_b32 v4, v[6:7], off
	v_dual_mov_b32 v6, 0 :: v_dual_mov_b32 v5, 0
	s_mov_b32 s4, exec_lo
	s_waitcnt vmcnt(0)
	v_cmpx_lt_i32_e64 v2, v4
	s_cbranch_execz .LBB72_9
; %bb.2:
	s_clause 0x1
	s_load_b32 s6, s[0:1], 0x20
	s_load_b64 s[8:9], s[0:1], 0x18
	v_dual_mov_b32 v6, 0 :: v_dual_mov_b32 v5, 0
	s_cmp_lg_u64 s[12:13], 0
	s_cselect_b32 s7, -1, 0
	s_waitcnt lgkmcnt(0)
	v_subrev_nc_u32_e32 v2, s6, v2
	v_subrev_nc_u32_e32 v7, s6, v4
	s_delay_alu instid0(VALU_DEP_2) | instskip(NEXT) | instid1(VALU_DEP_1)
	v_ashrrev_i32_e32 v3, 31, v2
	v_lshlrev_b64 v[8:9], 2, v[2:3]
	s_delay_alu instid0(VALU_DEP_1) | instskip(NEXT) | instid1(VALU_DEP_2)
	v_add_co_u32 v3, vcc_lo, s8, v8
	v_add_co_ci_u32_e32 v4, vcc_lo, s9, v9, vcc_lo
	s_set_inst_prefetch_distance 0x1
	s_branch .LBB72_4
	.p2align	6
.LBB72_3:                               ;   in Loop: Header=BB72_4 Depth=1
	s_or_b32 exec_lo, exec_lo, s2
	v_add_nc_u32_e32 v2, 1, v2
	v_add_co_u32 v3, s2, v3, 4
	s_delay_alu instid0(VALU_DEP_1) | instskip(NEXT) | instid1(VALU_DEP_3)
	v_add_co_ci_u32_e64 v4, s2, 0, v4, s2
	v_cmp_ge_i32_e32 vcc_lo, v2, v7
	s_or_b32 s5, vcc_lo, s5
	s_delay_alu instid0(SALU_CYCLE_1)
	s_and_not1_b32 exec_lo, exec_lo, s5
	s_cbranch_execz .LBB72_8
.LBB72_4:                               ; =>This Inner Loop Header: Depth=1
	global_load_b32 v8, v[3:4], off
	s_mov_b32 s2, exec_lo
	s_waitcnt vmcnt(0)
	v_subrev_nc_u32_e32 v8, s6, v8
	s_delay_alu instid0(VALU_DEP_1)
	v_cmpx_le_i32_e64 v8, v1
	s_xor_b32 s2, exec_lo, s2
; %bb.5:                                ;   in Loop: Header=BB72_4 Depth=1
	v_cmp_eq_u32_e32 vcc_lo, v8, v1
	s_and_b32 s8, s7, vcc_lo
	s_delay_alu instid0(SALU_CYCLE_1) | instskip(NEXT) | instid1(VALU_DEP_1)
	v_cndmask_b32_e64 v8, 0, 1, s8
	v_add_nc_u32_e32 v5, v5, v8
; %bb.6:                                ;   in Loop: Header=BB72_4 Depth=1
	s_and_not1_saveexec_b32 s2, s2
	s_cbranch_execz .LBB72_3
; %bb.7:                                ;   in Loop: Header=BB72_4 Depth=1
	v_add_nc_u32_e32 v6, 1, v6
	s_branch .LBB72_3
.LBB72_8:
	s_set_inst_prefetch_distance 0x2
	s_or_b32 exec_lo, exec_lo, s5
.LBB72_9:
	s_delay_alu instid0(SALU_CYCLE_1)
	s_or_b32 exec_lo, exec_lo, s4
.LBB72_10:
	s_delay_alu instid0(SALU_CYCLE_1)
	s_or_b32 exec_lo, exec_lo, s3
	v_lshlrev_b32_e32 v1, 2, v0
	v_cmp_gt_u32_e32 vcc_lo, 0x200, v0
	ds_store_b32 v1, v6
	s_waitcnt lgkmcnt(0)
	s_barrier
	buffer_gl0_inv
	s_and_saveexec_b32 s2, vcc_lo
	s_cbranch_execz .LBB72_12
; %bb.11:
	ds_load_2addr_stride64_b32 v[2:3], v1 offset1:8
	s_waitcnt lgkmcnt(0)
	v_add_nc_u32_e32 v2, v3, v2
	ds_store_b32 v1, v2
.LBB72_12:
	s_or_b32 exec_lo, exec_lo, s2
	v_cmp_gt_u32_e64 s2, 0x100, v0
	s_waitcnt lgkmcnt(0)
	s_barrier
	buffer_gl0_inv
	s_and_saveexec_b32 s3, s2
	s_cbranch_execz .LBB72_14
; %bb.13:
	ds_load_2addr_stride64_b32 v[2:3], v1 offset1:4
	s_waitcnt lgkmcnt(0)
	v_add_nc_u32_e32 v2, v3, v2
	ds_store_b32 v1, v2
.LBB72_14:
	s_or_b32 exec_lo, exec_lo, s3
	v_cmp_gt_u32_e64 s3, 0x80, v0
	s_waitcnt lgkmcnt(0)
	s_barrier
	buffer_gl0_inv
	s_and_saveexec_b32 s4, s3
	;; [unrolled: 13-line block ×4, first 2 shown]
	s_cbranch_execz .LBB72_20
; %bb.19:
	ds_load_2addr_b32 v[2:3], v1 offset1:32
	s_waitcnt lgkmcnt(0)
	v_add_nc_u32_e32 v2, v3, v2
	ds_store_b32 v1, v2
.LBB72_20:
	s_or_b32 exec_lo, exec_lo, s6
	v_cmp_gt_u32_e64 s6, 16, v0
	s_waitcnt lgkmcnt(0)
	s_barrier
	buffer_gl0_inv
	s_and_saveexec_b32 s7, s6
	s_cbranch_execz .LBB72_22
; %bb.21:
	ds_load_2addr_b32 v[2:3], v1 offset1:16
	s_waitcnt lgkmcnt(0)
	v_add_nc_u32_e32 v2, v3, v2
	ds_store_b32 v1, v2
.LBB72_22:
	s_or_b32 exec_lo, exec_lo, s7
	v_cmp_gt_u32_e64 s8, 8, v0
	s_waitcnt lgkmcnt(0)
	s_barrier
	buffer_gl0_inv
	s_and_saveexec_b32 s7, s8
	;; [unrolled: 13-line block ×4, first 2 shown]
	s_cbranch_execz .LBB72_28
; %bb.27:
	ds_load_2addr_b32 v[2:3], v1 offset1:2
	s_waitcnt lgkmcnt(0)
	v_add_nc_u32_e32 v2, v3, v2
	ds_store_b32 v1, v2
.LBB72_28:
	s_or_b32 exec_lo, exec_lo, s7
	v_cmp_eq_u32_e64 s7, 0, v0
	s_waitcnt lgkmcnt(0)
	s_barrier
	buffer_gl0_inv
	s_and_saveexec_b32 s11, s7
	s_cbranch_execz .LBB72_30
; %bb.29:
	v_mov_b32_e32 v0, 0
	ds_load_b64 v[2:3], v0
	s_waitcnt lgkmcnt(0)
	v_add_nc_u32_e32 v2, v3, v2
	ds_store_b32 v0, v2
.LBB72_30:
	s_or_b32 exec_lo, exec_lo, s11
	s_waitcnt lgkmcnt(0)
	s_barrier
	buffer_gl0_inv
	s_and_saveexec_b32 s14, s7
	s_cbranch_execz .LBB72_33
; %bb.31:
	s_mov_b32 s15, exec_lo
	s_delay_alu instid0(SALU_CYCLE_1) | instskip(NEXT) | instid1(VALU_DEP_1)
	v_mbcnt_lo_u32_b32 v0, s15, 0
	v_cmp_eq_u32_e64 s11, 0, v0
	s_delay_alu instid0(VALU_DEP_1) | instskip(NEXT) | instid1(SALU_CYCLE_1)
	s_and_b32 s11, exec_lo, s11
	s_mov_b32 exec_lo, s11
	s_cbranch_execz .LBB72_33
; %bb.32:
	v_mov_b32_e32 v0, 0
	s_load_b64 s[0:1], s[0:1], 0x28
	s_bcnt1_i32_b32 s11, s15
	ds_load_b32 v2, v0
	s_waitcnt lgkmcnt(0)
	v_mul_lo_u32 v2, v2, s11
	global_atomic_add_u32 v0, v2, s[0:1]
.LBB72_33:
	s_or_b32 exec_lo, exec_lo, s14
	s_cmp_eq_u64 s[12:13], 0
	s_cbranch_scc1 .LBB72_57
; %bb.34:
	ds_store_b32 v1, v5
	s_waitcnt lgkmcnt(0)
	s_waitcnt_vscnt null, 0x0
	s_barrier
	buffer_gl0_inv
	s_and_saveexec_b32 s0, vcc_lo
	s_cbranch_execz .LBB72_36
; %bb.35:
	ds_load_2addr_stride64_b32 v[2:3], v1 offset1:8
	s_waitcnt lgkmcnt(0)
	v_add_nc_u32_e32 v0, v3, v2
	ds_store_b32 v1, v0
.LBB72_36:
	s_or_b32 exec_lo, exec_lo, s0
	s_waitcnt lgkmcnt(0)
	s_barrier
	buffer_gl0_inv
	s_and_saveexec_b32 s0, s2
	s_cbranch_execz .LBB72_38
; %bb.37:
	ds_load_2addr_stride64_b32 v[2:3], v1 offset1:4
	s_waitcnt lgkmcnt(0)
	v_add_nc_u32_e32 v0, v3, v2
	ds_store_b32 v1, v0
.LBB72_38:
	s_or_b32 exec_lo, exec_lo, s0
	s_waitcnt lgkmcnt(0)
	s_barrier
	buffer_gl0_inv
	s_and_saveexec_b32 s0, s3
	;; [unrolled: 12-line block ×4, first 2 shown]
	s_cbranch_execz .LBB72_44
; %bb.43:
	ds_load_2addr_b32 v[2:3], v1 offset1:32
	s_waitcnt lgkmcnt(0)
	v_add_nc_u32_e32 v0, v3, v2
	ds_store_b32 v1, v0
.LBB72_44:
	s_or_b32 exec_lo, exec_lo, s0
	s_waitcnt lgkmcnt(0)
	s_barrier
	buffer_gl0_inv
	s_and_saveexec_b32 s0, s6
	s_cbranch_execz .LBB72_46
; %bb.45:
	ds_load_2addr_b32 v[2:3], v1 offset1:16
	s_waitcnt lgkmcnt(0)
	v_add_nc_u32_e32 v0, v3, v2
	ds_store_b32 v1, v0
.LBB72_46:
	s_or_b32 exec_lo, exec_lo, s0
	s_waitcnt lgkmcnt(0)
	s_barrier
	buffer_gl0_inv
	s_and_saveexec_b32 s0, s8
	;; [unrolled: 12-line block ×5, first 2 shown]
	s_cbranch_execz .LBB72_54
; %bb.53:
	v_mov_b32_e32 v2, 0
	ds_load_b64 v[0:1], v2
	s_waitcnt lgkmcnt(0)
	v_add_nc_u32_e32 v0, v1, v0
	ds_store_b32 v2, v0
.LBB72_54:
	s_or_b32 exec_lo, exec_lo, s0
	s_waitcnt lgkmcnt(0)
	s_barrier
	buffer_gl0_inv
	s_and_saveexec_b32 s0, s7
	s_cbranch_execz .LBB72_57
; %bb.55:
	s_mov_b32 s0, exec_lo
	s_delay_alu instid0(SALU_CYCLE_1) | instskip(NEXT) | instid1(VALU_DEP_1)
	v_mbcnt_lo_u32_b32 v0, s0, 0
	v_cmp_eq_u32_e32 vcc_lo, 0, v0
	s_and_b32 s1, exec_lo, vcc_lo
	s_delay_alu instid0(SALU_CYCLE_1)
	s_mov_b32 exec_lo, s1
	s_cbranch_execz .LBB72_57
; %bb.56:
	v_mov_b32_e32 v0, 0
	s_bcnt1_i32_b32 s0, s0
	ds_load_b32 v1, v0
	s_waitcnt lgkmcnt(0)
	v_mul_lo_u32 v1, v1, s0
	global_atomic_add_u32 v0, v1, s[12:13]
.LBB72_57:
	s_nop 0
	s_sendmsg sendmsg(MSG_DEALLOC_VGPRS)
	s_endpgm
	.section	.rodata,"a",@progbits
	.p2align	6, 0x0
	.amdhsa_kernel _ZN9rocsparseL19kernel_compute_unnzILj1024ELj32EiiEEvT2_PKT1_S4_PKS1_21rocsparse_index_base_PS2_S8_
		.amdhsa_group_segment_fixed_size 4096
		.amdhsa_private_segment_fixed_size 0
		.amdhsa_kernarg_size 312
		.amdhsa_user_sgpr_count 15
		.amdhsa_user_sgpr_dispatch_ptr 0
		.amdhsa_user_sgpr_queue_ptr 0
		.amdhsa_user_sgpr_kernarg_segment_ptr 1
		.amdhsa_user_sgpr_dispatch_id 0
		.amdhsa_user_sgpr_private_segment_size 0
		.amdhsa_wavefront_size32 1
		.amdhsa_uses_dynamic_stack 0
		.amdhsa_enable_private_segment 0
		.amdhsa_system_sgpr_workgroup_id_x 1
		.amdhsa_system_sgpr_workgroup_id_y 0
		.amdhsa_system_sgpr_workgroup_id_z 0
		.amdhsa_system_sgpr_workgroup_info 0
		.amdhsa_system_vgpr_workitem_id 0
		.amdhsa_next_free_vgpr 10
		.amdhsa_next_free_sgpr 16
		.amdhsa_reserve_vcc 1
		.amdhsa_float_round_mode_32 0
		.amdhsa_float_round_mode_16_64 0
		.amdhsa_float_denorm_mode_32 3
		.amdhsa_float_denorm_mode_16_64 3
		.amdhsa_dx10_clamp 1
		.amdhsa_ieee_mode 1
		.amdhsa_fp16_overflow 0
		.amdhsa_workgroup_processor_mode 1
		.amdhsa_memory_ordered 1
		.amdhsa_forward_progress 0
		.amdhsa_shared_vgpr_count 0
		.amdhsa_exception_fp_ieee_invalid_op 0
		.amdhsa_exception_fp_denorm_src 0
		.amdhsa_exception_fp_ieee_div_zero 0
		.amdhsa_exception_fp_ieee_overflow 0
		.amdhsa_exception_fp_ieee_underflow 0
		.amdhsa_exception_fp_ieee_inexact 0
		.amdhsa_exception_int_div_zero 0
	.end_amdhsa_kernel
	.section	.text._ZN9rocsparseL19kernel_compute_unnzILj1024ELj32EiiEEvT2_PKT1_S4_PKS1_21rocsparse_index_base_PS2_S8_,"axG",@progbits,_ZN9rocsparseL19kernel_compute_unnzILj1024ELj32EiiEEvT2_PKT1_S4_PKS1_21rocsparse_index_base_PS2_S8_,comdat
.Lfunc_end72:
	.size	_ZN9rocsparseL19kernel_compute_unnzILj1024ELj32EiiEEvT2_PKT1_S4_PKS1_21rocsparse_index_base_PS2_S8_, .Lfunc_end72-_ZN9rocsparseL19kernel_compute_unnzILj1024ELj32EiiEEvT2_PKT1_S4_PKS1_21rocsparse_index_base_PS2_S8_
                                        ; -- End function
	.section	.AMDGPU.csdata,"",@progbits
; Kernel info:
; codeLenInByte = 1800
; NumSgprs: 18
; NumVgprs: 10
; ScratchSize: 0
; MemoryBound: 0
; FloatMode: 240
; IeeeMode: 1
; LDSByteSize: 4096 bytes/workgroup (compile time only)
; SGPRBlocks: 2
; VGPRBlocks: 1
; NumSGPRsForWavesPerEU: 18
; NumVGPRsForWavesPerEU: 10
; Occupancy: 16
; WaveLimiterHint : 0
; COMPUTE_PGM_RSRC2:SCRATCH_EN: 0
; COMPUTE_PGM_RSRC2:USER_SGPR: 15
; COMPUTE_PGM_RSRC2:TRAP_HANDLER: 0
; COMPUTE_PGM_RSRC2:TGID_X_EN: 1
; COMPUTE_PGM_RSRC2:TGID_Y_EN: 0
; COMPUTE_PGM_RSRC2:TGID_Z_EN: 0
; COMPUTE_PGM_RSRC2:TIDIG_COMP_CNT: 0
	.section	.text._ZN9rocsparseL19kernel_compute_unnzILj1024ELj64EiiEEvT2_PKT1_S4_PKS1_21rocsparse_index_base_PS2_S8_,"axG",@progbits,_ZN9rocsparseL19kernel_compute_unnzILj1024ELj64EiiEEvT2_PKT1_S4_PKS1_21rocsparse_index_base_PS2_S8_,comdat
	.globl	_ZN9rocsparseL19kernel_compute_unnzILj1024ELj64EiiEEvT2_PKT1_S4_PKS1_21rocsparse_index_base_PS2_S8_ ; -- Begin function _ZN9rocsparseL19kernel_compute_unnzILj1024ELj64EiiEEvT2_PKT1_S4_PKS1_21rocsparse_index_base_PS2_S8_
	.p2align	8
	.type	_ZN9rocsparseL19kernel_compute_unnzILj1024ELj64EiiEEvT2_PKT1_S4_PKS1_21rocsparse_index_base_PS2_S8_,@function
_ZN9rocsparseL19kernel_compute_unnzILj1024ELj64EiiEEvT2_PKT1_S4_PKS1_21rocsparse_index_base_PS2_S8_: ; @_ZN9rocsparseL19kernel_compute_unnzILj1024ELj64EiiEEvT2_PKT1_S4_PKS1_21rocsparse_index_base_PS2_S8_
; %bb.0:
	s_clause 0x2
	s_load_b32 s2, s[0:1], 0x44
	s_load_b32 s3, s[0:1], 0x0
	s_load_b64 s[12:13], s[0:1], 0x30
	v_dual_mov_b32 v5, 0 :: v_dual_mov_b32 v6, 0
	s_waitcnt lgkmcnt(0)
	s_and_b32 s2, s2, 0xffff
	s_delay_alu instid0(SALU_CYCLE_1) | instskip(NEXT) | instid1(VALU_DEP_1)
	v_mad_u64_u32 v[1:2], null, s15, s2, v[0:1]
	v_cmp_gt_i32_e32 vcc_lo, s3, v1
	s_and_saveexec_b32 s3, vcc_lo
	s_cbranch_execz .LBB73_10
; %bb.1:
	s_load_b128 s[4:7], s[0:1], 0x8
	v_ashrrev_i32_e32 v2, 31, v1
	s_delay_alu instid0(VALU_DEP_1) | instskip(SKIP_1) | instid1(VALU_DEP_1)
	v_lshlrev_b64 v[2:3], 2, v[1:2]
	s_waitcnt lgkmcnt(0)
	v_add_co_u32 v4, vcc_lo, s4, v2
	s_delay_alu instid0(VALU_DEP_2)
	v_add_co_ci_u32_e32 v5, vcc_lo, s5, v3, vcc_lo
	v_add_co_u32 v6, vcc_lo, s6, v2
	v_add_co_ci_u32_e32 v7, vcc_lo, s7, v3, vcc_lo
	s_mov_b32 s5, 0
	global_load_b32 v2, v[4:5], off
	global_load_b32 v4, v[6:7], off
	v_dual_mov_b32 v6, 0 :: v_dual_mov_b32 v5, 0
	s_mov_b32 s4, exec_lo
	s_waitcnt vmcnt(0)
	v_cmpx_lt_i32_e64 v2, v4
	s_cbranch_execz .LBB73_9
; %bb.2:
	s_clause 0x1
	s_load_b32 s6, s[0:1], 0x20
	s_load_b64 s[8:9], s[0:1], 0x18
	v_dual_mov_b32 v6, 0 :: v_dual_mov_b32 v5, 0
	s_cmp_lg_u64 s[12:13], 0
	s_cselect_b32 s7, -1, 0
	s_waitcnt lgkmcnt(0)
	v_subrev_nc_u32_e32 v2, s6, v2
	v_subrev_nc_u32_e32 v7, s6, v4
	s_delay_alu instid0(VALU_DEP_2) | instskip(NEXT) | instid1(VALU_DEP_1)
	v_ashrrev_i32_e32 v3, 31, v2
	v_lshlrev_b64 v[8:9], 2, v[2:3]
	s_delay_alu instid0(VALU_DEP_1) | instskip(NEXT) | instid1(VALU_DEP_2)
	v_add_co_u32 v3, vcc_lo, s8, v8
	v_add_co_ci_u32_e32 v4, vcc_lo, s9, v9, vcc_lo
	s_set_inst_prefetch_distance 0x1
	s_branch .LBB73_4
	.p2align	6
.LBB73_3:                               ;   in Loop: Header=BB73_4 Depth=1
	s_or_b32 exec_lo, exec_lo, s2
	v_add_nc_u32_e32 v2, 1, v2
	v_add_co_u32 v3, s2, v3, 4
	s_delay_alu instid0(VALU_DEP_1) | instskip(NEXT) | instid1(VALU_DEP_3)
	v_add_co_ci_u32_e64 v4, s2, 0, v4, s2
	v_cmp_ge_i32_e32 vcc_lo, v2, v7
	s_or_b32 s5, vcc_lo, s5
	s_delay_alu instid0(SALU_CYCLE_1)
	s_and_not1_b32 exec_lo, exec_lo, s5
	s_cbranch_execz .LBB73_8
.LBB73_4:                               ; =>This Inner Loop Header: Depth=1
	global_load_b32 v8, v[3:4], off
	s_mov_b32 s2, exec_lo
	s_waitcnt vmcnt(0)
	v_subrev_nc_u32_e32 v8, s6, v8
	s_delay_alu instid0(VALU_DEP_1)
	v_cmpx_le_i32_e64 v8, v1
	s_xor_b32 s2, exec_lo, s2
; %bb.5:                                ;   in Loop: Header=BB73_4 Depth=1
	v_cmp_eq_u32_e32 vcc_lo, v8, v1
	s_and_b32 s8, s7, vcc_lo
	s_delay_alu instid0(SALU_CYCLE_1) | instskip(NEXT) | instid1(VALU_DEP_1)
	v_cndmask_b32_e64 v8, 0, 1, s8
	v_add_nc_u32_e32 v5, v5, v8
; %bb.6:                                ;   in Loop: Header=BB73_4 Depth=1
	s_and_not1_saveexec_b32 s2, s2
	s_cbranch_execz .LBB73_3
; %bb.7:                                ;   in Loop: Header=BB73_4 Depth=1
	v_add_nc_u32_e32 v6, 1, v6
	s_branch .LBB73_3
.LBB73_8:
	s_set_inst_prefetch_distance 0x2
	s_or_b32 exec_lo, exec_lo, s5
.LBB73_9:
	s_delay_alu instid0(SALU_CYCLE_1)
	s_or_b32 exec_lo, exec_lo, s4
.LBB73_10:
	s_delay_alu instid0(SALU_CYCLE_1)
	s_or_b32 exec_lo, exec_lo, s3
	v_lshlrev_b32_e32 v1, 2, v0
	v_cmp_gt_u32_e32 vcc_lo, 0x200, v0
	ds_store_b32 v1, v6
	s_waitcnt lgkmcnt(0)
	s_barrier
	buffer_gl0_inv
	s_and_saveexec_b32 s2, vcc_lo
	s_cbranch_execz .LBB73_12
; %bb.11:
	ds_load_2addr_stride64_b32 v[2:3], v1 offset1:8
	s_waitcnt lgkmcnt(0)
	v_add_nc_u32_e32 v2, v3, v2
	ds_store_b32 v1, v2
.LBB73_12:
	s_or_b32 exec_lo, exec_lo, s2
	v_cmp_gt_u32_e64 s2, 0x100, v0
	s_waitcnt lgkmcnt(0)
	s_barrier
	buffer_gl0_inv
	s_and_saveexec_b32 s3, s2
	s_cbranch_execz .LBB73_14
; %bb.13:
	ds_load_2addr_stride64_b32 v[2:3], v1 offset1:4
	s_waitcnt lgkmcnt(0)
	v_add_nc_u32_e32 v2, v3, v2
	ds_store_b32 v1, v2
.LBB73_14:
	s_or_b32 exec_lo, exec_lo, s3
	v_cmp_gt_u32_e64 s3, 0x80, v0
	s_waitcnt lgkmcnt(0)
	s_barrier
	buffer_gl0_inv
	s_and_saveexec_b32 s4, s3
	;; [unrolled: 13-line block ×4, first 2 shown]
	s_cbranch_execz .LBB73_20
; %bb.19:
	ds_load_2addr_b32 v[2:3], v1 offset1:32
	s_waitcnt lgkmcnt(0)
	v_add_nc_u32_e32 v2, v3, v2
	ds_store_b32 v1, v2
.LBB73_20:
	s_or_b32 exec_lo, exec_lo, s6
	v_cmp_gt_u32_e64 s6, 16, v0
	s_waitcnt lgkmcnt(0)
	s_barrier
	buffer_gl0_inv
	s_and_saveexec_b32 s7, s6
	s_cbranch_execz .LBB73_22
; %bb.21:
	ds_load_2addr_b32 v[2:3], v1 offset1:16
	s_waitcnt lgkmcnt(0)
	v_add_nc_u32_e32 v2, v3, v2
	ds_store_b32 v1, v2
.LBB73_22:
	s_or_b32 exec_lo, exec_lo, s7
	v_cmp_gt_u32_e64 s8, 8, v0
	s_waitcnt lgkmcnt(0)
	s_barrier
	buffer_gl0_inv
	s_and_saveexec_b32 s7, s8
	;; [unrolled: 13-line block ×4, first 2 shown]
	s_cbranch_execz .LBB73_28
; %bb.27:
	ds_load_2addr_b32 v[2:3], v1 offset1:2
	s_waitcnt lgkmcnt(0)
	v_add_nc_u32_e32 v2, v3, v2
	ds_store_b32 v1, v2
.LBB73_28:
	s_or_b32 exec_lo, exec_lo, s7
	v_cmp_eq_u32_e64 s7, 0, v0
	s_waitcnt lgkmcnt(0)
	s_barrier
	buffer_gl0_inv
	s_and_saveexec_b32 s11, s7
	s_cbranch_execz .LBB73_30
; %bb.29:
	v_mov_b32_e32 v0, 0
	ds_load_b64 v[2:3], v0
	s_waitcnt lgkmcnt(0)
	v_add_nc_u32_e32 v2, v3, v2
	ds_store_b32 v0, v2
.LBB73_30:
	s_or_b32 exec_lo, exec_lo, s11
	s_waitcnt lgkmcnt(0)
	s_barrier
	buffer_gl0_inv
	s_and_saveexec_b32 s14, s7
	s_cbranch_execz .LBB73_33
; %bb.31:
	s_mov_b32 s15, exec_lo
	s_delay_alu instid0(SALU_CYCLE_1) | instskip(NEXT) | instid1(VALU_DEP_1)
	v_mbcnt_lo_u32_b32 v0, s15, 0
	v_cmp_eq_u32_e64 s11, 0, v0
	s_delay_alu instid0(VALU_DEP_1) | instskip(NEXT) | instid1(SALU_CYCLE_1)
	s_and_b32 s11, exec_lo, s11
	s_mov_b32 exec_lo, s11
	s_cbranch_execz .LBB73_33
; %bb.32:
	v_mov_b32_e32 v0, 0
	s_load_b64 s[0:1], s[0:1], 0x28
	s_bcnt1_i32_b32 s11, s15
	ds_load_b32 v2, v0
	s_waitcnt lgkmcnt(0)
	v_mul_lo_u32 v2, v2, s11
	global_atomic_add_u32 v0, v2, s[0:1]
.LBB73_33:
	s_or_b32 exec_lo, exec_lo, s14
	s_cmp_eq_u64 s[12:13], 0
	s_cbranch_scc1 .LBB73_57
; %bb.34:
	ds_store_b32 v1, v5
	s_waitcnt lgkmcnt(0)
	s_waitcnt_vscnt null, 0x0
	s_barrier
	buffer_gl0_inv
	s_and_saveexec_b32 s0, vcc_lo
	s_cbranch_execz .LBB73_36
; %bb.35:
	ds_load_2addr_stride64_b32 v[2:3], v1 offset1:8
	s_waitcnt lgkmcnt(0)
	v_add_nc_u32_e32 v0, v3, v2
	ds_store_b32 v1, v0
.LBB73_36:
	s_or_b32 exec_lo, exec_lo, s0
	s_waitcnt lgkmcnt(0)
	s_barrier
	buffer_gl0_inv
	s_and_saveexec_b32 s0, s2
	s_cbranch_execz .LBB73_38
; %bb.37:
	ds_load_2addr_stride64_b32 v[2:3], v1 offset1:4
	s_waitcnt lgkmcnt(0)
	v_add_nc_u32_e32 v0, v3, v2
	ds_store_b32 v1, v0
.LBB73_38:
	s_or_b32 exec_lo, exec_lo, s0
	s_waitcnt lgkmcnt(0)
	s_barrier
	buffer_gl0_inv
	s_and_saveexec_b32 s0, s3
	s_cbranch_execz .LBB73_40
; %bb.39:
	ds_load_2addr_stride64_b32 v[2:3], v1 offset1:2
	s_waitcnt lgkmcnt(0)
	v_add_nc_u32_e32 v0, v3, v2
	ds_store_b32 v1, v0
.LBB73_40:
	s_or_b32 exec_lo, exec_lo, s0
	s_waitcnt lgkmcnt(0)
	s_barrier
	buffer_gl0_inv
	s_and_saveexec_b32 s0, s4
	s_cbranch_execz .LBB73_42
; %bb.41:
	ds_load_2addr_stride64_b32 v[2:3], v1 offset1:1
	s_waitcnt lgkmcnt(0)
	v_add_nc_u32_e32 v0, v3, v2
	ds_store_b32 v1, v0
.LBB73_42:
	s_or_b32 exec_lo, exec_lo, s0
	s_waitcnt lgkmcnt(0)
	s_barrier
	buffer_gl0_inv
	s_and_saveexec_b32 s0, s5
	s_cbranch_execz .LBB73_44
; %bb.43:
	ds_load_2addr_b32 v[2:3], v1 offset1:32
	s_waitcnt lgkmcnt(0)
	v_add_nc_u32_e32 v0, v3, v2
	ds_store_b32 v1, v0
.LBB73_44:
	s_or_b32 exec_lo, exec_lo, s0
	s_waitcnt lgkmcnt(0)
	s_barrier
	buffer_gl0_inv
	s_and_saveexec_b32 s0, s6
	s_cbranch_execz .LBB73_46
; %bb.45:
	ds_load_2addr_b32 v[2:3], v1 offset1:16
	s_waitcnt lgkmcnt(0)
	v_add_nc_u32_e32 v0, v3, v2
	ds_store_b32 v1, v0
.LBB73_46:
	s_or_b32 exec_lo, exec_lo, s0
	s_waitcnt lgkmcnt(0)
	s_barrier
	buffer_gl0_inv
	s_and_saveexec_b32 s0, s8
	;; [unrolled: 12-line block ×5, first 2 shown]
	s_cbranch_execz .LBB73_54
; %bb.53:
	v_mov_b32_e32 v2, 0
	ds_load_b64 v[0:1], v2
	s_waitcnt lgkmcnt(0)
	v_add_nc_u32_e32 v0, v1, v0
	ds_store_b32 v2, v0
.LBB73_54:
	s_or_b32 exec_lo, exec_lo, s0
	s_waitcnt lgkmcnt(0)
	s_barrier
	buffer_gl0_inv
	s_and_saveexec_b32 s0, s7
	s_cbranch_execz .LBB73_57
; %bb.55:
	s_mov_b32 s0, exec_lo
	s_delay_alu instid0(SALU_CYCLE_1) | instskip(NEXT) | instid1(VALU_DEP_1)
	v_mbcnt_lo_u32_b32 v0, s0, 0
	v_cmp_eq_u32_e32 vcc_lo, 0, v0
	s_and_b32 s1, exec_lo, vcc_lo
	s_delay_alu instid0(SALU_CYCLE_1)
	s_mov_b32 exec_lo, s1
	s_cbranch_execz .LBB73_57
; %bb.56:
	v_mov_b32_e32 v0, 0
	s_bcnt1_i32_b32 s0, s0
	ds_load_b32 v1, v0
	s_waitcnt lgkmcnt(0)
	v_mul_lo_u32 v1, v1, s0
	global_atomic_add_u32 v0, v1, s[12:13]
.LBB73_57:
	s_nop 0
	s_sendmsg sendmsg(MSG_DEALLOC_VGPRS)
	s_endpgm
	.section	.rodata,"a",@progbits
	.p2align	6, 0x0
	.amdhsa_kernel _ZN9rocsparseL19kernel_compute_unnzILj1024ELj64EiiEEvT2_PKT1_S4_PKS1_21rocsparse_index_base_PS2_S8_
		.amdhsa_group_segment_fixed_size 4096
		.amdhsa_private_segment_fixed_size 0
		.amdhsa_kernarg_size 312
		.amdhsa_user_sgpr_count 15
		.amdhsa_user_sgpr_dispatch_ptr 0
		.amdhsa_user_sgpr_queue_ptr 0
		.amdhsa_user_sgpr_kernarg_segment_ptr 1
		.amdhsa_user_sgpr_dispatch_id 0
		.amdhsa_user_sgpr_private_segment_size 0
		.amdhsa_wavefront_size32 1
		.amdhsa_uses_dynamic_stack 0
		.amdhsa_enable_private_segment 0
		.amdhsa_system_sgpr_workgroup_id_x 1
		.amdhsa_system_sgpr_workgroup_id_y 0
		.amdhsa_system_sgpr_workgroup_id_z 0
		.amdhsa_system_sgpr_workgroup_info 0
		.amdhsa_system_vgpr_workitem_id 0
		.amdhsa_next_free_vgpr 10
		.amdhsa_next_free_sgpr 16
		.amdhsa_reserve_vcc 1
		.amdhsa_float_round_mode_32 0
		.amdhsa_float_round_mode_16_64 0
		.amdhsa_float_denorm_mode_32 3
		.amdhsa_float_denorm_mode_16_64 3
		.amdhsa_dx10_clamp 1
		.amdhsa_ieee_mode 1
		.amdhsa_fp16_overflow 0
		.amdhsa_workgroup_processor_mode 1
		.amdhsa_memory_ordered 1
		.amdhsa_forward_progress 0
		.amdhsa_shared_vgpr_count 0
		.amdhsa_exception_fp_ieee_invalid_op 0
		.amdhsa_exception_fp_denorm_src 0
		.amdhsa_exception_fp_ieee_div_zero 0
		.amdhsa_exception_fp_ieee_overflow 0
		.amdhsa_exception_fp_ieee_underflow 0
		.amdhsa_exception_fp_ieee_inexact 0
		.amdhsa_exception_int_div_zero 0
	.end_amdhsa_kernel
	.section	.text._ZN9rocsparseL19kernel_compute_unnzILj1024ELj64EiiEEvT2_PKT1_S4_PKS1_21rocsparse_index_base_PS2_S8_,"axG",@progbits,_ZN9rocsparseL19kernel_compute_unnzILj1024ELj64EiiEEvT2_PKT1_S4_PKS1_21rocsparse_index_base_PS2_S8_,comdat
.Lfunc_end73:
	.size	_ZN9rocsparseL19kernel_compute_unnzILj1024ELj64EiiEEvT2_PKT1_S4_PKS1_21rocsparse_index_base_PS2_S8_, .Lfunc_end73-_ZN9rocsparseL19kernel_compute_unnzILj1024ELj64EiiEEvT2_PKT1_S4_PKS1_21rocsparse_index_base_PS2_S8_
                                        ; -- End function
	.section	.AMDGPU.csdata,"",@progbits
; Kernel info:
; codeLenInByte = 1800
; NumSgprs: 18
; NumVgprs: 10
; ScratchSize: 0
; MemoryBound: 0
; FloatMode: 240
; IeeeMode: 1
; LDSByteSize: 4096 bytes/workgroup (compile time only)
; SGPRBlocks: 2
; VGPRBlocks: 1
; NumSGPRsForWavesPerEU: 18
; NumVGPRsForWavesPerEU: 10
; Occupancy: 16
; WaveLimiterHint : 0
; COMPUTE_PGM_RSRC2:SCRATCH_EN: 0
; COMPUTE_PGM_RSRC2:USER_SGPR: 15
; COMPUTE_PGM_RSRC2:TRAP_HANDLER: 0
; COMPUTE_PGM_RSRC2:TGID_X_EN: 1
; COMPUTE_PGM_RSRC2:TGID_Y_EN: 0
; COMPUTE_PGM_RSRC2:TGID_Z_EN: 0
; COMPUTE_PGM_RSRC2:TIDIG_COMP_CNT: 0
	.section	.text._ZN9rocsparseL23kernel_compute_lptr_endILj1024ELj32EiiEEvT2_PKT1_S4_PKS1_21rocsparse_index_base_PS2_,"axG",@progbits,_ZN9rocsparseL23kernel_compute_lptr_endILj1024ELj32EiiEEvT2_PKT1_S4_PKS1_21rocsparse_index_base_PS2_,comdat
	.globl	_ZN9rocsparseL23kernel_compute_lptr_endILj1024ELj32EiiEEvT2_PKT1_S4_PKS1_21rocsparse_index_base_PS2_ ; -- Begin function _ZN9rocsparseL23kernel_compute_lptr_endILj1024ELj32EiiEEvT2_PKT1_S4_PKS1_21rocsparse_index_base_PS2_
	.p2align	8
	.type	_ZN9rocsparseL23kernel_compute_lptr_endILj1024ELj32EiiEEvT2_PKT1_S4_PKS1_21rocsparse_index_base_PS2_,@function
_ZN9rocsparseL23kernel_compute_lptr_endILj1024ELj32EiiEEvT2_PKT1_S4_PKS1_21rocsparse_index_base_PS2_: ; @_ZN9rocsparseL23kernel_compute_lptr_endILj1024ELj32EiiEEvT2_PKT1_S4_PKS1_21rocsparse_index_base_PS2_
; %bb.0:
	s_clause 0x1
	s_load_b32 s2, s[0:1], 0x3c
	s_load_b32 s3, s[0:1], 0x0
	s_waitcnt lgkmcnt(0)
	s_and_b32 s2, s2, 0xffff
	s_delay_alu instid0(SALU_CYCLE_1) | instskip(SKIP_1) | instid1(VALU_DEP_1)
	v_mad_u64_u32 v[1:2], null, s15, s2, v[0:1]
	s_mov_b32 s2, exec_lo
	v_cmpx_gt_i32_e64 s3, v1
	s_cbranch_execz .LBB74_8
; %bb.1:
	s_clause 0x1
	s_load_b128 s[8:11], s[0:1], 0x8
	s_load_b32 s4, s[0:1], 0x20
	v_ashrrev_i32_e32 v2, 31, v1
	s_load_b64 s[2:3], s[0:1], 0x28
	s_mov_b32 s5, exec_lo
	s_delay_alu instid0(VALU_DEP_1) | instskip(SKIP_1) | instid1(VALU_DEP_1)
	v_lshlrev_b64 v[2:3], 2, v[1:2]
	s_waitcnt lgkmcnt(0)
	v_add_co_u32 v4, vcc_lo, s10, v2
	s_delay_alu instid0(VALU_DEP_2)
	v_add_co_ci_u32_e32 v5, vcc_lo, s11, v3, vcc_lo
	v_add_co_u32 v6, vcc_lo, s8, v2
	v_add_co_ci_u32_e32 v7, vcc_lo, s9, v3, vcc_lo
	global_load_b32 v5, v[4:5], off
	global_load_b32 v4, v[6:7], off
	s_waitcnt vmcnt(1)
	v_subrev_nc_u32_e32 v0, s4, v5
	s_waitcnt vmcnt(0)
	v_cmpx_lt_i32_e64 v4, v5
	s_cbranch_execz .LBB74_7
; %bb.2:
	s_load_b64 s[0:1], s[0:1], 0x18
	v_subrev_nc_u32_e32 v6, s4, v4
                                        ; implicit-def: $sgpr6
	s_delay_alu instid0(VALU_DEP_1) | instskip(NEXT) | instid1(VALU_DEP_1)
	v_ashrrev_i32_e32 v7, 31, v6
	v_lshlrev_b64 v[4:5], 2, v[6:7]
	s_waitcnt lgkmcnt(0)
	s_delay_alu instid0(VALU_DEP_1) | instskip(NEXT) | instid1(VALU_DEP_2)
	v_add_co_u32 v4, vcc_lo, s0, v4
	v_add_co_ci_u32_e32 v5, vcc_lo, s1, v5, vcc_lo
	s_mov_b32 s1, 0
	s_set_inst_prefetch_distance 0x1
	s_branch .LBB74_4
	.p2align	6
.LBB74_3:                               ;   in Loop: Header=BB74_4 Depth=1
	s_or_b32 exec_lo, exec_lo, s7
	v_mov_b32_e32 v8, v6
	v_mov_b32_e32 v6, v7
	s_and_b32 s0, exec_lo, s6
	s_delay_alu instid0(SALU_CYCLE_1) | instskip(NEXT) | instid1(SALU_CYCLE_1)
	s_or_b32 s1, s0, s1
	s_and_not1_b32 exec_lo, exec_lo, s1
	s_cbranch_execz .LBB74_6
.LBB74_4:                               ; =>This Inner Loop Header: Depth=1
	global_load_b32 v7, v[4:5], off
	s_or_b32 s6, s6, exec_lo
	s_waitcnt vmcnt(0)
	v_subrev_nc_u32_e32 v7, s4, v7
	s_delay_alu instid0(VALU_DEP_1)
	v_cmp_lt_i32_e32 vcc_lo, v7, v1
                                        ; implicit-def: $vgpr7
	s_and_saveexec_b32 s7, vcc_lo
	s_cbranch_execz .LBB74_3
; %bb.5:                                ;   in Loop: Header=BB74_4 Depth=1
	v_dual_mov_b32 v6, v0 :: v_dual_add_nc_u32 v7, 1, v6
	v_add_co_u32 v4, s0, v4, 4
	s_delay_alu instid0(VALU_DEP_1) | instskip(NEXT) | instid1(VALU_DEP_3)
	v_add_co_ci_u32_e64 v5, s0, 0, v5, s0
	v_cmp_ge_i32_e32 vcc_lo, v7, v0
	s_and_not1_b32 s0, s6, exec_lo
	s_and_b32 s6, vcc_lo, exec_lo
	s_delay_alu instid0(SALU_CYCLE_1)
	s_or_b32 s6, s0, s6
	s_branch .LBB74_3
.LBB74_6:
	s_set_inst_prefetch_distance 0x2
	s_or_b32 exec_lo, exec_lo, s1
	v_mov_b32_e32 v0, v8
.LBB74_7:
	s_or_b32 exec_lo, exec_lo, s5
	s_delay_alu instid0(VALU_DEP_1)
	v_add_nc_u32_e32 v4, s4, v0
	v_add_co_u32 v0, vcc_lo, s2, v2
	v_add_co_ci_u32_e32 v1, vcc_lo, s3, v3, vcc_lo
	global_store_b32 v[0:1], v4, off
.LBB74_8:
	s_nop 0
	s_sendmsg sendmsg(MSG_DEALLOC_VGPRS)
	s_endpgm
	.section	.rodata,"a",@progbits
	.p2align	6, 0x0
	.amdhsa_kernel _ZN9rocsparseL23kernel_compute_lptr_endILj1024ELj32EiiEEvT2_PKT1_S4_PKS1_21rocsparse_index_base_PS2_
		.amdhsa_group_segment_fixed_size 0
		.amdhsa_private_segment_fixed_size 0
		.amdhsa_kernarg_size 304
		.amdhsa_user_sgpr_count 15
		.amdhsa_user_sgpr_dispatch_ptr 0
		.amdhsa_user_sgpr_queue_ptr 0
		.amdhsa_user_sgpr_kernarg_segment_ptr 1
		.amdhsa_user_sgpr_dispatch_id 0
		.amdhsa_user_sgpr_private_segment_size 0
		.amdhsa_wavefront_size32 1
		.amdhsa_uses_dynamic_stack 0
		.amdhsa_enable_private_segment 0
		.amdhsa_system_sgpr_workgroup_id_x 1
		.amdhsa_system_sgpr_workgroup_id_y 0
		.amdhsa_system_sgpr_workgroup_id_z 0
		.amdhsa_system_sgpr_workgroup_info 0
		.amdhsa_system_vgpr_workitem_id 0
		.amdhsa_next_free_vgpr 9
		.amdhsa_next_free_sgpr 16
		.amdhsa_reserve_vcc 1
		.amdhsa_float_round_mode_32 0
		.amdhsa_float_round_mode_16_64 0
		.amdhsa_float_denorm_mode_32 3
		.amdhsa_float_denorm_mode_16_64 3
		.amdhsa_dx10_clamp 1
		.amdhsa_ieee_mode 1
		.amdhsa_fp16_overflow 0
		.amdhsa_workgroup_processor_mode 1
		.amdhsa_memory_ordered 1
		.amdhsa_forward_progress 0
		.amdhsa_shared_vgpr_count 0
		.amdhsa_exception_fp_ieee_invalid_op 0
		.amdhsa_exception_fp_denorm_src 0
		.amdhsa_exception_fp_ieee_div_zero 0
		.amdhsa_exception_fp_ieee_overflow 0
		.amdhsa_exception_fp_ieee_underflow 0
		.amdhsa_exception_fp_ieee_inexact 0
		.amdhsa_exception_int_div_zero 0
	.end_amdhsa_kernel
	.section	.text._ZN9rocsparseL23kernel_compute_lptr_endILj1024ELj32EiiEEvT2_PKT1_S4_PKS1_21rocsparse_index_base_PS2_,"axG",@progbits,_ZN9rocsparseL23kernel_compute_lptr_endILj1024ELj32EiiEEvT2_PKT1_S4_PKS1_21rocsparse_index_base_PS2_,comdat
.Lfunc_end74:
	.size	_ZN9rocsparseL23kernel_compute_lptr_endILj1024ELj32EiiEEvT2_PKT1_S4_PKS1_21rocsparse_index_base_PS2_, .Lfunc_end74-_ZN9rocsparseL23kernel_compute_lptr_endILj1024ELj32EiiEEvT2_PKT1_S4_PKS1_21rocsparse_index_base_PS2_
                                        ; -- End function
	.section	.AMDGPU.csdata,"",@progbits
; Kernel info:
; codeLenInByte = 416
; NumSgprs: 18
; NumVgprs: 9
; ScratchSize: 0
; MemoryBound: 0
; FloatMode: 240
; IeeeMode: 1
; LDSByteSize: 0 bytes/workgroup (compile time only)
; SGPRBlocks: 2
; VGPRBlocks: 1
; NumSGPRsForWavesPerEU: 18
; NumVGPRsForWavesPerEU: 9
; Occupancy: 16
; WaveLimiterHint : 0
; COMPUTE_PGM_RSRC2:SCRATCH_EN: 0
; COMPUTE_PGM_RSRC2:USER_SGPR: 15
; COMPUTE_PGM_RSRC2:TRAP_HANDLER: 0
; COMPUTE_PGM_RSRC2:TGID_X_EN: 1
; COMPUTE_PGM_RSRC2:TGID_Y_EN: 0
; COMPUTE_PGM_RSRC2:TGID_Z_EN: 0
; COMPUTE_PGM_RSRC2:TIDIG_COMP_CNT: 0
	.section	.text._ZN9rocsparseL23kernel_compute_lptr_endILj1024ELj64EiiEEvT2_PKT1_S4_PKS1_21rocsparse_index_base_PS2_,"axG",@progbits,_ZN9rocsparseL23kernel_compute_lptr_endILj1024ELj64EiiEEvT2_PKT1_S4_PKS1_21rocsparse_index_base_PS2_,comdat
	.globl	_ZN9rocsparseL23kernel_compute_lptr_endILj1024ELj64EiiEEvT2_PKT1_S4_PKS1_21rocsparse_index_base_PS2_ ; -- Begin function _ZN9rocsparseL23kernel_compute_lptr_endILj1024ELj64EiiEEvT2_PKT1_S4_PKS1_21rocsparse_index_base_PS2_
	.p2align	8
	.type	_ZN9rocsparseL23kernel_compute_lptr_endILj1024ELj64EiiEEvT2_PKT1_S4_PKS1_21rocsparse_index_base_PS2_,@function
_ZN9rocsparseL23kernel_compute_lptr_endILj1024ELj64EiiEEvT2_PKT1_S4_PKS1_21rocsparse_index_base_PS2_: ; @_ZN9rocsparseL23kernel_compute_lptr_endILj1024ELj64EiiEEvT2_PKT1_S4_PKS1_21rocsparse_index_base_PS2_
; %bb.0:
	s_clause 0x1
	s_load_b32 s2, s[0:1], 0x3c
	s_load_b32 s3, s[0:1], 0x0
	s_waitcnt lgkmcnt(0)
	s_and_b32 s2, s2, 0xffff
	s_delay_alu instid0(SALU_CYCLE_1) | instskip(SKIP_1) | instid1(VALU_DEP_1)
	v_mad_u64_u32 v[1:2], null, s15, s2, v[0:1]
	s_mov_b32 s2, exec_lo
	v_cmpx_gt_i32_e64 s3, v1
	s_cbranch_execz .LBB75_8
; %bb.1:
	s_clause 0x1
	s_load_b128 s[8:11], s[0:1], 0x8
	s_load_b32 s4, s[0:1], 0x20
	v_ashrrev_i32_e32 v2, 31, v1
	s_load_b64 s[2:3], s[0:1], 0x28
	s_mov_b32 s5, exec_lo
	s_delay_alu instid0(VALU_DEP_1) | instskip(SKIP_1) | instid1(VALU_DEP_1)
	v_lshlrev_b64 v[2:3], 2, v[1:2]
	s_waitcnt lgkmcnt(0)
	v_add_co_u32 v4, vcc_lo, s10, v2
	s_delay_alu instid0(VALU_DEP_2)
	v_add_co_ci_u32_e32 v5, vcc_lo, s11, v3, vcc_lo
	v_add_co_u32 v6, vcc_lo, s8, v2
	v_add_co_ci_u32_e32 v7, vcc_lo, s9, v3, vcc_lo
	global_load_b32 v5, v[4:5], off
	global_load_b32 v4, v[6:7], off
	s_waitcnt vmcnt(1)
	v_subrev_nc_u32_e32 v0, s4, v5
	s_waitcnt vmcnt(0)
	v_cmpx_lt_i32_e64 v4, v5
	s_cbranch_execz .LBB75_7
; %bb.2:
	s_load_b64 s[0:1], s[0:1], 0x18
	v_subrev_nc_u32_e32 v6, s4, v4
                                        ; implicit-def: $sgpr6
	s_delay_alu instid0(VALU_DEP_1) | instskip(NEXT) | instid1(VALU_DEP_1)
	v_ashrrev_i32_e32 v7, 31, v6
	v_lshlrev_b64 v[4:5], 2, v[6:7]
	s_waitcnt lgkmcnt(0)
	s_delay_alu instid0(VALU_DEP_1) | instskip(NEXT) | instid1(VALU_DEP_2)
	v_add_co_u32 v4, vcc_lo, s0, v4
	v_add_co_ci_u32_e32 v5, vcc_lo, s1, v5, vcc_lo
	s_mov_b32 s1, 0
	s_set_inst_prefetch_distance 0x1
	s_branch .LBB75_4
	.p2align	6
.LBB75_3:                               ;   in Loop: Header=BB75_4 Depth=1
	s_or_b32 exec_lo, exec_lo, s7
	v_mov_b32_e32 v8, v6
	v_mov_b32_e32 v6, v7
	s_and_b32 s0, exec_lo, s6
	s_delay_alu instid0(SALU_CYCLE_1) | instskip(NEXT) | instid1(SALU_CYCLE_1)
	s_or_b32 s1, s0, s1
	s_and_not1_b32 exec_lo, exec_lo, s1
	s_cbranch_execz .LBB75_6
.LBB75_4:                               ; =>This Inner Loop Header: Depth=1
	global_load_b32 v7, v[4:5], off
	s_or_b32 s6, s6, exec_lo
	s_waitcnt vmcnt(0)
	v_subrev_nc_u32_e32 v7, s4, v7
	s_delay_alu instid0(VALU_DEP_1)
	v_cmp_lt_i32_e32 vcc_lo, v7, v1
                                        ; implicit-def: $vgpr7
	s_and_saveexec_b32 s7, vcc_lo
	s_cbranch_execz .LBB75_3
; %bb.5:                                ;   in Loop: Header=BB75_4 Depth=1
	v_dual_mov_b32 v6, v0 :: v_dual_add_nc_u32 v7, 1, v6
	v_add_co_u32 v4, s0, v4, 4
	s_delay_alu instid0(VALU_DEP_1) | instskip(NEXT) | instid1(VALU_DEP_3)
	v_add_co_ci_u32_e64 v5, s0, 0, v5, s0
	v_cmp_ge_i32_e32 vcc_lo, v7, v0
	s_and_not1_b32 s0, s6, exec_lo
	s_and_b32 s6, vcc_lo, exec_lo
	s_delay_alu instid0(SALU_CYCLE_1)
	s_or_b32 s6, s0, s6
	s_branch .LBB75_3
.LBB75_6:
	s_set_inst_prefetch_distance 0x2
	s_or_b32 exec_lo, exec_lo, s1
	v_mov_b32_e32 v0, v8
.LBB75_7:
	s_or_b32 exec_lo, exec_lo, s5
	s_delay_alu instid0(VALU_DEP_1)
	v_add_nc_u32_e32 v4, s4, v0
	v_add_co_u32 v0, vcc_lo, s2, v2
	v_add_co_ci_u32_e32 v1, vcc_lo, s3, v3, vcc_lo
	global_store_b32 v[0:1], v4, off
.LBB75_8:
	s_nop 0
	s_sendmsg sendmsg(MSG_DEALLOC_VGPRS)
	s_endpgm
	.section	.rodata,"a",@progbits
	.p2align	6, 0x0
	.amdhsa_kernel _ZN9rocsparseL23kernel_compute_lptr_endILj1024ELj64EiiEEvT2_PKT1_S4_PKS1_21rocsparse_index_base_PS2_
		.amdhsa_group_segment_fixed_size 0
		.amdhsa_private_segment_fixed_size 0
		.amdhsa_kernarg_size 304
		.amdhsa_user_sgpr_count 15
		.amdhsa_user_sgpr_dispatch_ptr 0
		.amdhsa_user_sgpr_queue_ptr 0
		.amdhsa_user_sgpr_kernarg_segment_ptr 1
		.amdhsa_user_sgpr_dispatch_id 0
		.amdhsa_user_sgpr_private_segment_size 0
		.amdhsa_wavefront_size32 1
		.amdhsa_uses_dynamic_stack 0
		.amdhsa_enable_private_segment 0
		.amdhsa_system_sgpr_workgroup_id_x 1
		.amdhsa_system_sgpr_workgroup_id_y 0
		.amdhsa_system_sgpr_workgroup_id_z 0
		.amdhsa_system_sgpr_workgroup_info 0
		.amdhsa_system_vgpr_workitem_id 0
		.amdhsa_next_free_vgpr 9
		.amdhsa_next_free_sgpr 16
		.amdhsa_reserve_vcc 1
		.amdhsa_float_round_mode_32 0
		.amdhsa_float_round_mode_16_64 0
		.amdhsa_float_denorm_mode_32 3
		.amdhsa_float_denorm_mode_16_64 3
		.amdhsa_dx10_clamp 1
		.amdhsa_ieee_mode 1
		.amdhsa_fp16_overflow 0
		.amdhsa_workgroup_processor_mode 1
		.amdhsa_memory_ordered 1
		.amdhsa_forward_progress 0
		.amdhsa_shared_vgpr_count 0
		.amdhsa_exception_fp_ieee_invalid_op 0
		.amdhsa_exception_fp_denorm_src 0
		.amdhsa_exception_fp_ieee_div_zero 0
		.amdhsa_exception_fp_ieee_overflow 0
		.amdhsa_exception_fp_ieee_underflow 0
		.amdhsa_exception_fp_ieee_inexact 0
		.amdhsa_exception_int_div_zero 0
	.end_amdhsa_kernel
	.section	.text._ZN9rocsparseL23kernel_compute_lptr_endILj1024ELj64EiiEEvT2_PKT1_S4_PKS1_21rocsparse_index_base_PS2_,"axG",@progbits,_ZN9rocsparseL23kernel_compute_lptr_endILj1024ELj64EiiEEvT2_PKT1_S4_PKS1_21rocsparse_index_base_PS2_,comdat
.Lfunc_end75:
	.size	_ZN9rocsparseL23kernel_compute_lptr_endILj1024ELj64EiiEEvT2_PKT1_S4_PKS1_21rocsparse_index_base_PS2_, .Lfunc_end75-_ZN9rocsparseL23kernel_compute_lptr_endILj1024ELj64EiiEEvT2_PKT1_S4_PKS1_21rocsparse_index_base_PS2_
                                        ; -- End function
	.section	.AMDGPU.csdata,"",@progbits
; Kernel info:
; codeLenInByte = 416
; NumSgprs: 18
; NumVgprs: 9
; ScratchSize: 0
; MemoryBound: 0
; FloatMode: 240
; IeeeMode: 1
; LDSByteSize: 0 bytes/workgroup (compile time only)
; SGPRBlocks: 2
; VGPRBlocks: 1
; NumSGPRsForWavesPerEU: 18
; NumVGPRsForWavesPerEU: 9
; Occupancy: 16
; WaveLimiterHint : 0
; COMPUTE_PGM_RSRC2:SCRATCH_EN: 0
; COMPUTE_PGM_RSRC2:USER_SGPR: 15
; COMPUTE_PGM_RSRC2:TRAP_HANDLER: 0
; COMPUTE_PGM_RSRC2:TGID_X_EN: 1
; COMPUTE_PGM_RSRC2:TGID_Y_EN: 0
; COMPUTE_PGM_RSRC2:TGID_Z_EN: 0
; COMPUTE_PGM_RSRC2:TIDIG_COMP_CNT: 0
	.section	.text._ZN9rocsparseL26kernel_initialize_ucsr_ptrILj1024ELj32EiiEEvT2_PKT1_S4_PS2_21rocsparse_index_base_,"axG",@progbits,_ZN9rocsparseL26kernel_initialize_ucsr_ptrILj1024ELj32EiiEEvT2_PKT1_S4_PS2_21rocsparse_index_base_,comdat
	.globl	_ZN9rocsparseL26kernel_initialize_ucsr_ptrILj1024ELj32EiiEEvT2_PKT1_S4_PS2_21rocsparse_index_base_ ; -- Begin function _ZN9rocsparseL26kernel_initialize_ucsr_ptrILj1024ELj32EiiEEvT2_PKT1_S4_PS2_21rocsparse_index_base_
	.p2align	8
	.type	_ZN9rocsparseL26kernel_initialize_ucsr_ptrILj1024ELj32EiiEEvT2_PKT1_S4_PS2_21rocsparse_index_base_,@function
_ZN9rocsparseL26kernel_initialize_ucsr_ptrILj1024ELj32EiiEEvT2_PKT1_S4_PS2_21rocsparse_index_base_: ; @_ZN9rocsparseL26kernel_initialize_ucsr_ptrILj1024ELj32EiiEEvT2_PKT1_S4_PS2_21rocsparse_index_base_
; %bb.0:
	s_clause 0x1
	s_load_b32 s2, s[0:1], 0x34
	s_load_b32 s3, s[0:1], 0x0
	s_waitcnt lgkmcnt(0)
	s_and_b32 s2, s2, 0xffff
	s_delay_alu instid0(SALU_CYCLE_1) | instskip(SKIP_1) | instid1(VALU_DEP_1)
	v_mad_u64_u32 v[1:2], null, s15, s2, v[0:1]
	s_mov_b32 s2, exec_lo
	v_cmpx_gt_i32_e64 s3, v1
	s_cbranch_execz .LBB76_4
; %bb.1:
	s_clause 0x1
	s_load_b128 s[4:7], s[0:1], 0x8
	s_load_b64 s[2:3], s[0:1], 0x18
	s_mov_b32 s8, exec_lo
	v_cmpx_eq_u32_e32 0, v1
	s_cbranch_execz .LBB76_3
; %bb.2:
	s_load_b32 s0, s[0:1], 0x20
	v_mov_b32_e32 v0, 0
	s_waitcnt lgkmcnt(0)
	v_mov_b32_e32 v2, s0
	global_store_b32 v0, v2, s[2:3]
.LBB76_3:
	s_or_b32 exec_lo, exec_lo, s8
	v_ashrrev_i32_e32 v2, 31, v1
	s_delay_alu instid0(VALU_DEP_1) | instskip(SKIP_1) | instid1(VALU_DEP_1)
	v_lshlrev_b64 v[0:1], 2, v[1:2]
	s_waitcnt lgkmcnt(0)
	v_add_co_u32 v2, vcc_lo, s6, v0
	s_delay_alu instid0(VALU_DEP_2)
	v_add_co_ci_u32_e32 v3, vcc_lo, s7, v1, vcc_lo
	v_add_co_u32 v4, vcc_lo, s4, v0
	v_add_co_ci_u32_e32 v5, vcc_lo, s5, v1, vcc_lo
	v_add_co_u32 v0, vcc_lo, s2, v0
	global_load_b32 v2, v[2:3], off
	global_load_b32 v3, v[4:5], off
	v_add_co_ci_u32_e32 v1, vcc_lo, s3, v1, vcc_lo
	s_waitcnt vmcnt(0)
	v_xad_u32 v2, v3, -1, v2
	global_store_b32 v[0:1], v2, off offset:4
.LBB76_4:
	s_nop 0
	s_sendmsg sendmsg(MSG_DEALLOC_VGPRS)
	s_endpgm
	.section	.rodata,"a",@progbits
	.p2align	6, 0x0
	.amdhsa_kernel _ZN9rocsparseL26kernel_initialize_ucsr_ptrILj1024ELj32EiiEEvT2_PKT1_S4_PS2_21rocsparse_index_base_
		.amdhsa_group_segment_fixed_size 0
		.amdhsa_private_segment_fixed_size 0
		.amdhsa_kernarg_size 296
		.amdhsa_user_sgpr_count 15
		.amdhsa_user_sgpr_dispatch_ptr 0
		.amdhsa_user_sgpr_queue_ptr 0
		.amdhsa_user_sgpr_kernarg_segment_ptr 1
		.amdhsa_user_sgpr_dispatch_id 0
		.amdhsa_user_sgpr_private_segment_size 0
		.amdhsa_wavefront_size32 1
		.amdhsa_uses_dynamic_stack 0
		.amdhsa_enable_private_segment 0
		.amdhsa_system_sgpr_workgroup_id_x 1
		.amdhsa_system_sgpr_workgroup_id_y 0
		.amdhsa_system_sgpr_workgroup_id_z 0
		.amdhsa_system_sgpr_workgroup_info 0
		.amdhsa_system_vgpr_workitem_id 0
		.amdhsa_next_free_vgpr 6
		.amdhsa_next_free_sgpr 16
		.amdhsa_reserve_vcc 1
		.amdhsa_float_round_mode_32 0
		.amdhsa_float_round_mode_16_64 0
		.amdhsa_float_denorm_mode_32 3
		.amdhsa_float_denorm_mode_16_64 3
		.amdhsa_dx10_clamp 1
		.amdhsa_ieee_mode 1
		.amdhsa_fp16_overflow 0
		.amdhsa_workgroup_processor_mode 1
		.amdhsa_memory_ordered 1
		.amdhsa_forward_progress 0
		.amdhsa_shared_vgpr_count 0
		.amdhsa_exception_fp_ieee_invalid_op 0
		.amdhsa_exception_fp_denorm_src 0
		.amdhsa_exception_fp_ieee_div_zero 0
		.amdhsa_exception_fp_ieee_overflow 0
		.amdhsa_exception_fp_ieee_underflow 0
		.amdhsa_exception_fp_ieee_inexact 0
		.amdhsa_exception_int_div_zero 0
	.end_amdhsa_kernel
	.section	.text._ZN9rocsparseL26kernel_initialize_ucsr_ptrILj1024ELj32EiiEEvT2_PKT1_S4_PS2_21rocsparse_index_base_,"axG",@progbits,_ZN9rocsparseL26kernel_initialize_ucsr_ptrILj1024ELj32EiiEEvT2_PKT1_S4_PS2_21rocsparse_index_base_,comdat
.Lfunc_end76:
	.size	_ZN9rocsparseL26kernel_initialize_ucsr_ptrILj1024ELj32EiiEEvT2_PKT1_S4_PS2_21rocsparse_index_base_, .Lfunc_end76-_ZN9rocsparseL26kernel_initialize_ucsr_ptrILj1024ELj32EiiEEvT2_PKT1_S4_PS2_21rocsparse_index_base_
                                        ; -- End function
	.section	.AMDGPU.csdata,"",@progbits
; Kernel info:
; codeLenInByte = 232
; NumSgprs: 18
; NumVgprs: 6
; ScratchSize: 0
; MemoryBound: 0
; FloatMode: 240
; IeeeMode: 1
; LDSByteSize: 0 bytes/workgroup (compile time only)
; SGPRBlocks: 2
; VGPRBlocks: 0
; NumSGPRsForWavesPerEU: 18
; NumVGPRsForWavesPerEU: 6
; Occupancy: 16
; WaveLimiterHint : 0
; COMPUTE_PGM_RSRC2:SCRATCH_EN: 0
; COMPUTE_PGM_RSRC2:USER_SGPR: 15
; COMPUTE_PGM_RSRC2:TRAP_HANDLER: 0
; COMPUTE_PGM_RSRC2:TGID_X_EN: 1
; COMPUTE_PGM_RSRC2:TGID_Y_EN: 0
; COMPUTE_PGM_RSRC2:TGID_Z_EN: 0
; COMPUTE_PGM_RSRC2:TIDIG_COMP_CNT: 0
	.section	.text._ZN9rocsparseL26kernel_initialize_ucsr_ptrILj1024ELj64EiiEEvT2_PKT1_S4_PS2_21rocsparse_index_base_,"axG",@progbits,_ZN9rocsparseL26kernel_initialize_ucsr_ptrILj1024ELj64EiiEEvT2_PKT1_S4_PS2_21rocsparse_index_base_,comdat
	.globl	_ZN9rocsparseL26kernel_initialize_ucsr_ptrILj1024ELj64EiiEEvT2_PKT1_S4_PS2_21rocsparse_index_base_ ; -- Begin function _ZN9rocsparseL26kernel_initialize_ucsr_ptrILj1024ELj64EiiEEvT2_PKT1_S4_PS2_21rocsparse_index_base_
	.p2align	8
	.type	_ZN9rocsparseL26kernel_initialize_ucsr_ptrILj1024ELj64EiiEEvT2_PKT1_S4_PS2_21rocsparse_index_base_,@function
_ZN9rocsparseL26kernel_initialize_ucsr_ptrILj1024ELj64EiiEEvT2_PKT1_S4_PS2_21rocsparse_index_base_: ; @_ZN9rocsparseL26kernel_initialize_ucsr_ptrILj1024ELj64EiiEEvT2_PKT1_S4_PS2_21rocsparse_index_base_
; %bb.0:
	s_clause 0x1
	s_load_b32 s2, s[0:1], 0x34
	s_load_b32 s3, s[0:1], 0x0
	s_waitcnt lgkmcnt(0)
	s_and_b32 s2, s2, 0xffff
	s_delay_alu instid0(SALU_CYCLE_1) | instskip(SKIP_1) | instid1(VALU_DEP_1)
	v_mad_u64_u32 v[1:2], null, s15, s2, v[0:1]
	s_mov_b32 s2, exec_lo
	v_cmpx_gt_i32_e64 s3, v1
	s_cbranch_execz .LBB77_4
; %bb.1:
	s_clause 0x1
	s_load_b128 s[4:7], s[0:1], 0x8
	s_load_b64 s[2:3], s[0:1], 0x18
	s_mov_b32 s8, exec_lo
	v_cmpx_eq_u32_e32 0, v1
	s_cbranch_execz .LBB77_3
; %bb.2:
	s_load_b32 s0, s[0:1], 0x20
	v_mov_b32_e32 v0, 0
	s_waitcnt lgkmcnt(0)
	v_mov_b32_e32 v2, s0
	global_store_b32 v0, v2, s[2:3]
.LBB77_3:
	s_or_b32 exec_lo, exec_lo, s8
	v_ashrrev_i32_e32 v2, 31, v1
	s_delay_alu instid0(VALU_DEP_1) | instskip(SKIP_1) | instid1(VALU_DEP_1)
	v_lshlrev_b64 v[0:1], 2, v[1:2]
	s_waitcnt lgkmcnt(0)
	v_add_co_u32 v2, vcc_lo, s6, v0
	s_delay_alu instid0(VALU_DEP_2)
	v_add_co_ci_u32_e32 v3, vcc_lo, s7, v1, vcc_lo
	v_add_co_u32 v4, vcc_lo, s4, v0
	v_add_co_ci_u32_e32 v5, vcc_lo, s5, v1, vcc_lo
	v_add_co_u32 v0, vcc_lo, s2, v0
	global_load_b32 v2, v[2:3], off
	global_load_b32 v3, v[4:5], off
	v_add_co_ci_u32_e32 v1, vcc_lo, s3, v1, vcc_lo
	s_waitcnt vmcnt(0)
	v_xad_u32 v2, v3, -1, v2
	global_store_b32 v[0:1], v2, off offset:4
.LBB77_4:
	s_nop 0
	s_sendmsg sendmsg(MSG_DEALLOC_VGPRS)
	s_endpgm
	.section	.rodata,"a",@progbits
	.p2align	6, 0x0
	.amdhsa_kernel _ZN9rocsparseL26kernel_initialize_ucsr_ptrILj1024ELj64EiiEEvT2_PKT1_S4_PS2_21rocsparse_index_base_
		.amdhsa_group_segment_fixed_size 0
		.amdhsa_private_segment_fixed_size 0
		.amdhsa_kernarg_size 296
		.amdhsa_user_sgpr_count 15
		.amdhsa_user_sgpr_dispatch_ptr 0
		.amdhsa_user_sgpr_queue_ptr 0
		.amdhsa_user_sgpr_kernarg_segment_ptr 1
		.amdhsa_user_sgpr_dispatch_id 0
		.amdhsa_user_sgpr_private_segment_size 0
		.amdhsa_wavefront_size32 1
		.amdhsa_uses_dynamic_stack 0
		.amdhsa_enable_private_segment 0
		.amdhsa_system_sgpr_workgroup_id_x 1
		.amdhsa_system_sgpr_workgroup_id_y 0
		.amdhsa_system_sgpr_workgroup_id_z 0
		.amdhsa_system_sgpr_workgroup_info 0
		.amdhsa_system_vgpr_workitem_id 0
		.amdhsa_next_free_vgpr 6
		.amdhsa_next_free_sgpr 16
		.amdhsa_reserve_vcc 1
		.amdhsa_float_round_mode_32 0
		.amdhsa_float_round_mode_16_64 0
		.amdhsa_float_denorm_mode_32 3
		.amdhsa_float_denorm_mode_16_64 3
		.amdhsa_dx10_clamp 1
		.amdhsa_ieee_mode 1
		.amdhsa_fp16_overflow 0
		.amdhsa_workgroup_processor_mode 1
		.amdhsa_memory_ordered 1
		.amdhsa_forward_progress 0
		.amdhsa_shared_vgpr_count 0
		.amdhsa_exception_fp_ieee_invalid_op 0
		.amdhsa_exception_fp_denorm_src 0
		.amdhsa_exception_fp_ieee_div_zero 0
		.amdhsa_exception_fp_ieee_overflow 0
		.amdhsa_exception_fp_ieee_underflow 0
		.amdhsa_exception_fp_ieee_inexact 0
		.amdhsa_exception_int_div_zero 0
	.end_amdhsa_kernel
	.section	.text._ZN9rocsparseL26kernel_initialize_ucsr_ptrILj1024ELj64EiiEEvT2_PKT1_S4_PS2_21rocsparse_index_base_,"axG",@progbits,_ZN9rocsparseL26kernel_initialize_ucsr_ptrILj1024ELj64EiiEEvT2_PKT1_S4_PS2_21rocsparse_index_base_,comdat
.Lfunc_end77:
	.size	_ZN9rocsparseL26kernel_initialize_ucsr_ptrILj1024ELj64EiiEEvT2_PKT1_S4_PS2_21rocsparse_index_base_, .Lfunc_end77-_ZN9rocsparseL26kernel_initialize_ucsr_ptrILj1024ELj64EiiEEvT2_PKT1_S4_PS2_21rocsparse_index_base_
                                        ; -- End function
	.section	.AMDGPU.csdata,"",@progbits
; Kernel info:
; codeLenInByte = 232
; NumSgprs: 18
; NumVgprs: 6
; ScratchSize: 0
; MemoryBound: 0
; FloatMode: 240
; IeeeMode: 1
; LDSByteSize: 0 bytes/workgroup (compile time only)
; SGPRBlocks: 2
; VGPRBlocks: 0
; NumSGPRsForWavesPerEU: 18
; NumVGPRsForWavesPerEU: 6
; Occupancy: 16
; WaveLimiterHint : 0
; COMPUTE_PGM_RSRC2:SCRATCH_EN: 0
; COMPUTE_PGM_RSRC2:USER_SGPR: 15
; COMPUTE_PGM_RSRC2:TRAP_HANDLER: 0
; COMPUTE_PGM_RSRC2:TGID_X_EN: 1
; COMPUTE_PGM_RSRC2:TGID_Y_EN: 0
; COMPUTE_PGM_RSRC2:TGID_Z_EN: 0
; COMPUTE_PGM_RSRC2:TIDIG_COMP_CNT: 0
	.section	.text._ZN9rocsparseL18kernel_compute_cooILj1024ELj32EiiEEvT2_PKT1_S4_PKS1_21rocsparse_index_base_S4_PS1_S8_PS2_,"axG",@progbits,_ZN9rocsparseL18kernel_compute_cooILj1024ELj32EiiEEvT2_PKT1_S4_PKS1_21rocsparse_index_base_S4_PS1_S8_PS2_,comdat
	.globl	_ZN9rocsparseL18kernel_compute_cooILj1024ELj32EiiEEvT2_PKT1_S4_PKS1_21rocsparse_index_base_S4_PS1_S8_PS2_ ; -- Begin function _ZN9rocsparseL18kernel_compute_cooILj1024ELj32EiiEEvT2_PKT1_S4_PKS1_21rocsparse_index_base_S4_PS1_S8_PS2_
	.p2align	8
	.type	_ZN9rocsparseL18kernel_compute_cooILj1024ELj32EiiEEvT2_PKT1_S4_PKS1_21rocsparse_index_base_S4_PS1_S8_PS2_,@function
_ZN9rocsparseL18kernel_compute_cooILj1024ELj32EiiEEvT2_PKT1_S4_PKS1_21rocsparse_index_base_S4_PS1_S8_PS2_: ; @_ZN9rocsparseL18kernel_compute_cooILj1024ELj32EiiEEvT2_PKT1_S4_PKS1_21rocsparse_index_base_S4_PS1_S8_PS2_
; %bb.0:
	s_clause 0x1
	s_load_b32 s2, s[0:1], 0x54
	s_load_b32 s3, s[0:1], 0x0
	s_waitcnt lgkmcnt(0)
	s_and_b32 s2, s2, 0xffff
	s_delay_alu instid0(SALU_CYCLE_1) | instskip(SKIP_1) | instid1(VALU_DEP_1)
	v_mad_u64_u32 v[1:2], null, s15, s2, v[0:1]
	s_mov_b32 s2, exec_lo
	v_cmpx_gt_i32_e64 s3, v1
	s_cbranch_execz .LBB78_4
; %bb.1:
	s_load_b128 s[4:7], s[0:1], 0x8
	v_ashrrev_i32_e32 v2, 31, v1
	s_mov_b32 s12, 0
	s_delay_alu instid0(VALU_DEP_1) | instskip(SKIP_1) | instid1(VALU_DEP_1)
	v_lshlrev_b64 v[2:3], 2, v[1:2]
	s_waitcnt lgkmcnt(0)
	v_add_co_u32 v4, vcc_lo, s4, v2
	s_delay_alu instid0(VALU_DEP_2)
	v_add_co_ci_u32_e32 v5, vcc_lo, s5, v3, vcc_lo
	v_add_co_u32 v6, vcc_lo, s6, v2
	v_add_co_ci_u32_e32 v7, vcc_lo, s7, v3, vcc_lo
	global_load_b32 v4, v[4:5], off
	global_load_b32 v0, v[6:7], off
	s_waitcnt vmcnt(0)
	v_xad_u32 v0, v4, -1, v0
	s_delay_alu instid0(VALU_DEP_1)
	v_cmp_lt_i32_e32 vcc_lo, 0, v0
	s_and_b32 exec_lo, exec_lo, vcc_lo
	s_cbranch_execz .LBB78_4
; %bb.2:
	s_load_b256 s[4:11], s[0:1], 0x28
	s_waitcnt lgkmcnt(0)
	v_add_co_u32 v2, vcc_lo, s4, v2
	v_add_co_ci_u32_e32 v3, vcc_lo, s5, v3, vcc_lo
	global_load_b32 v3, v[2:3], off
	s_clause 0x1
	s_load_b32 s4, s[0:1], 0x20
	s_load_b64 s[2:3], s[0:1], 0x18
	s_mov_b32 s1, 0
	s_waitcnt lgkmcnt(0)
	v_subrev_nc_u32_e32 v2, s4, v4
	v_add_nc_u32_e32 v1, s4, v1
	s_delay_alu instid0(VALU_DEP_2)
	v_add_nc_u32_e32 v2, 1, v2
	s_waitcnt vmcnt(0)
	v_subrev_nc_u32_e32 v3, s4, v3
	s_set_inst_prefetch_distance 0x1
	.p2align	6
.LBB78_3:                               ; =>This Inner Loop Header: Depth=1
	s_delay_alu instid0(VALU_DEP_2) | instskip(NEXT) | instid1(VALU_DEP_1)
	v_add_nc_u32_e32 v4, s1, v2
	v_ashrrev_i32_e32 v5, 31, v4
	s_delay_alu instid0(VALU_DEP_1) | instskip(NEXT) | instid1(VALU_DEP_1)
	v_lshlrev_b64 v[5:6], 2, v[4:5]
	v_add_co_u32 v5, vcc_lo, s2, v5
	s_delay_alu instid0(VALU_DEP_2) | instskip(SKIP_3) | instid1(SALU_CYCLE_1)
	v_add_co_ci_u32_e32 v6, vcc_lo, s3, v6, vcc_lo
	global_load_b32 v11, v[5:6], off
	v_add_nc_u32_e32 v5, s1, v3
	s_add_i32 s1, s1, 1
	v_cmp_ge_i32_e32 vcc_lo, s1, v0
	s_delay_alu instid0(VALU_DEP_2) | instskip(SKIP_1) | instid1(VALU_DEP_1)
	v_ashrrev_i32_e32 v6, 31, v5
	s_or_b32 s12, vcc_lo, s12
	v_lshlrev_b64 v[5:6], 2, v[5:6]
	s_delay_alu instid0(VALU_DEP_1) | instskip(NEXT) | instid1(VALU_DEP_1)
	v_add_co_u32 v7, s0, s6, v5
	v_add_co_ci_u32_e64 v8, s0, s7, v6, s0
	v_add_co_u32 v9, s0, s10, v5
	s_delay_alu instid0(VALU_DEP_1) | instskip(SKIP_1) | instid1(VALU_DEP_1)
	v_add_co_ci_u32_e64 v10, s0, s11, v6, s0
	v_add_co_u32 v5, s0, s8, v5
	v_add_co_ci_u32_e64 v6, s0, s9, v6, s0
	global_store_b32 v[7:8], v1, off
	global_store_b32 v[9:10], v4, off
	s_waitcnt vmcnt(0)
	global_store_b32 v[5:6], v11, off
	s_and_not1_b32 exec_lo, exec_lo, s12
	s_cbranch_execnz .LBB78_3
.LBB78_4:
	s_set_inst_prefetch_distance 0x2
	s_nop 0
	s_sendmsg sendmsg(MSG_DEALLOC_VGPRS)
	s_endpgm
	.section	.rodata,"a",@progbits
	.p2align	6, 0x0
	.amdhsa_kernel _ZN9rocsparseL18kernel_compute_cooILj1024ELj32EiiEEvT2_PKT1_S4_PKS1_21rocsparse_index_base_S4_PS1_S8_PS2_
		.amdhsa_group_segment_fixed_size 0
		.amdhsa_private_segment_fixed_size 0
		.amdhsa_kernarg_size 328
		.amdhsa_user_sgpr_count 15
		.amdhsa_user_sgpr_dispatch_ptr 0
		.amdhsa_user_sgpr_queue_ptr 0
		.amdhsa_user_sgpr_kernarg_segment_ptr 1
		.amdhsa_user_sgpr_dispatch_id 0
		.amdhsa_user_sgpr_private_segment_size 0
		.amdhsa_wavefront_size32 1
		.amdhsa_uses_dynamic_stack 0
		.amdhsa_enable_private_segment 0
		.amdhsa_system_sgpr_workgroup_id_x 1
		.amdhsa_system_sgpr_workgroup_id_y 0
		.amdhsa_system_sgpr_workgroup_id_z 0
		.amdhsa_system_sgpr_workgroup_info 0
		.amdhsa_system_vgpr_workitem_id 0
		.amdhsa_next_free_vgpr 12
		.amdhsa_next_free_sgpr 16
		.amdhsa_reserve_vcc 1
		.amdhsa_float_round_mode_32 0
		.amdhsa_float_round_mode_16_64 0
		.amdhsa_float_denorm_mode_32 3
		.amdhsa_float_denorm_mode_16_64 3
		.amdhsa_dx10_clamp 1
		.amdhsa_ieee_mode 1
		.amdhsa_fp16_overflow 0
		.amdhsa_workgroup_processor_mode 1
		.amdhsa_memory_ordered 1
		.amdhsa_forward_progress 0
		.amdhsa_shared_vgpr_count 0
		.amdhsa_exception_fp_ieee_invalid_op 0
		.amdhsa_exception_fp_denorm_src 0
		.amdhsa_exception_fp_ieee_div_zero 0
		.amdhsa_exception_fp_ieee_overflow 0
		.amdhsa_exception_fp_ieee_underflow 0
		.amdhsa_exception_fp_ieee_inexact 0
		.amdhsa_exception_int_div_zero 0
	.end_amdhsa_kernel
	.section	.text._ZN9rocsparseL18kernel_compute_cooILj1024ELj32EiiEEvT2_PKT1_S4_PKS1_21rocsparse_index_base_S4_PS1_S8_PS2_,"axG",@progbits,_ZN9rocsparseL18kernel_compute_cooILj1024ELj32EiiEEvT2_PKT1_S4_PKS1_21rocsparse_index_base_S4_PS1_S8_PS2_,comdat
.Lfunc_end78:
	.size	_ZN9rocsparseL18kernel_compute_cooILj1024ELj32EiiEEvT2_PKT1_S4_PKS1_21rocsparse_index_base_S4_PS1_S8_PS2_, .Lfunc_end78-_ZN9rocsparseL18kernel_compute_cooILj1024ELj32EiiEEvT2_PKT1_S4_PKS1_21rocsparse_index_base_S4_PS1_S8_PS2_
                                        ; -- End function
	.section	.AMDGPU.csdata,"",@progbits
; Kernel info:
; codeLenInByte = 440
; NumSgprs: 18
; NumVgprs: 12
; ScratchSize: 0
; MemoryBound: 0
; FloatMode: 240
; IeeeMode: 1
; LDSByteSize: 0 bytes/workgroup (compile time only)
; SGPRBlocks: 2
; VGPRBlocks: 1
; NumSGPRsForWavesPerEU: 18
; NumVGPRsForWavesPerEU: 12
; Occupancy: 16
; WaveLimiterHint : 1
; COMPUTE_PGM_RSRC2:SCRATCH_EN: 0
; COMPUTE_PGM_RSRC2:USER_SGPR: 15
; COMPUTE_PGM_RSRC2:TRAP_HANDLER: 0
; COMPUTE_PGM_RSRC2:TGID_X_EN: 1
; COMPUTE_PGM_RSRC2:TGID_Y_EN: 0
; COMPUTE_PGM_RSRC2:TGID_Z_EN: 0
; COMPUTE_PGM_RSRC2:TIDIG_COMP_CNT: 0
	.section	.text._ZN9rocsparseL18kernel_compute_cooILj1024ELj64EiiEEvT2_PKT1_S4_PKS1_21rocsparse_index_base_S4_PS1_S8_PS2_,"axG",@progbits,_ZN9rocsparseL18kernel_compute_cooILj1024ELj64EiiEEvT2_PKT1_S4_PKS1_21rocsparse_index_base_S4_PS1_S8_PS2_,comdat
	.globl	_ZN9rocsparseL18kernel_compute_cooILj1024ELj64EiiEEvT2_PKT1_S4_PKS1_21rocsparse_index_base_S4_PS1_S8_PS2_ ; -- Begin function _ZN9rocsparseL18kernel_compute_cooILj1024ELj64EiiEEvT2_PKT1_S4_PKS1_21rocsparse_index_base_S4_PS1_S8_PS2_
	.p2align	8
	.type	_ZN9rocsparseL18kernel_compute_cooILj1024ELj64EiiEEvT2_PKT1_S4_PKS1_21rocsparse_index_base_S4_PS1_S8_PS2_,@function
_ZN9rocsparseL18kernel_compute_cooILj1024ELj64EiiEEvT2_PKT1_S4_PKS1_21rocsparse_index_base_S4_PS1_S8_PS2_: ; @_ZN9rocsparseL18kernel_compute_cooILj1024ELj64EiiEEvT2_PKT1_S4_PKS1_21rocsparse_index_base_S4_PS1_S8_PS2_
; %bb.0:
	s_clause 0x1
	s_load_b32 s2, s[0:1], 0x54
	s_load_b32 s3, s[0:1], 0x0
	s_waitcnt lgkmcnt(0)
	s_and_b32 s2, s2, 0xffff
	s_delay_alu instid0(SALU_CYCLE_1) | instskip(SKIP_1) | instid1(VALU_DEP_1)
	v_mad_u64_u32 v[1:2], null, s15, s2, v[0:1]
	s_mov_b32 s2, exec_lo
	v_cmpx_gt_i32_e64 s3, v1
	s_cbranch_execz .LBB79_4
; %bb.1:
	s_load_b128 s[4:7], s[0:1], 0x8
	v_ashrrev_i32_e32 v2, 31, v1
	s_mov_b32 s12, 0
	s_delay_alu instid0(VALU_DEP_1) | instskip(SKIP_1) | instid1(VALU_DEP_1)
	v_lshlrev_b64 v[2:3], 2, v[1:2]
	s_waitcnt lgkmcnt(0)
	v_add_co_u32 v4, vcc_lo, s4, v2
	s_delay_alu instid0(VALU_DEP_2)
	v_add_co_ci_u32_e32 v5, vcc_lo, s5, v3, vcc_lo
	v_add_co_u32 v6, vcc_lo, s6, v2
	v_add_co_ci_u32_e32 v7, vcc_lo, s7, v3, vcc_lo
	global_load_b32 v4, v[4:5], off
	global_load_b32 v0, v[6:7], off
	s_waitcnt vmcnt(0)
	v_xad_u32 v0, v4, -1, v0
	s_delay_alu instid0(VALU_DEP_1)
	v_cmp_lt_i32_e32 vcc_lo, 0, v0
	s_and_b32 exec_lo, exec_lo, vcc_lo
	s_cbranch_execz .LBB79_4
; %bb.2:
	s_load_b256 s[4:11], s[0:1], 0x28
	s_waitcnt lgkmcnt(0)
	v_add_co_u32 v2, vcc_lo, s4, v2
	v_add_co_ci_u32_e32 v3, vcc_lo, s5, v3, vcc_lo
	global_load_b32 v3, v[2:3], off
	s_clause 0x1
	s_load_b32 s4, s[0:1], 0x20
	s_load_b64 s[2:3], s[0:1], 0x18
	s_mov_b32 s1, 0
	s_waitcnt lgkmcnt(0)
	v_subrev_nc_u32_e32 v2, s4, v4
	v_add_nc_u32_e32 v1, s4, v1
	s_delay_alu instid0(VALU_DEP_2)
	v_add_nc_u32_e32 v2, 1, v2
	s_waitcnt vmcnt(0)
	v_subrev_nc_u32_e32 v3, s4, v3
	s_set_inst_prefetch_distance 0x1
	.p2align	6
.LBB79_3:                               ; =>This Inner Loop Header: Depth=1
	s_delay_alu instid0(VALU_DEP_2) | instskip(NEXT) | instid1(VALU_DEP_1)
	v_add_nc_u32_e32 v4, s1, v2
	v_ashrrev_i32_e32 v5, 31, v4
	s_delay_alu instid0(VALU_DEP_1) | instskip(NEXT) | instid1(VALU_DEP_1)
	v_lshlrev_b64 v[5:6], 2, v[4:5]
	v_add_co_u32 v5, vcc_lo, s2, v5
	s_delay_alu instid0(VALU_DEP_2) | instskip(SKIP_3) | instid1(SALU_CYCLE_1)
	v_add_co_ci_u32_e32 v6, vcc_lo, s3, v6, vcc_lo
	global_load_b32 v11, v[5:6], off
	v_add_nc_u32_e32 v5, s1, v3
	s_add_i32 s1, s1, 1
	v_cmp_ge_i32_e32 vcc_lo, s1, v0
	s_delay_alu instid0(VALU_DEP_2) | instskip(SKIP_1) | instid1(VALU_DEP_1)
	v_ashrrev_i32_e32 v6, 31, v5
	s_or_b32 s12, vcc_lo, s12
	v_lshlrev_b64 v[5:6], 2, v[5:6]
	s_delay_alu instid0(VALU_DEP_1) | instskip(NEXT) | instid1(VALU_DEP_1)
	v_add_co_u32 v7, s0, s6, v5
	v_add_co_ci_u32_e64 v8, s0, s7, v6, s0
	v_add_co_u32 v9, s0, s10, v5
	s_delay_alu instid0(VALU_DEP_1) | instskip(SKIP_1) | instid1(VALU_DEP_1)
	v_add_co_ci_u32_e64 v10, s0, s11, v6, s0
	v_add_co_u32 v5, s0, s8, v5
	v_add_co_ci_u32_e64 v6, s0, s9, v6, s0
	global_store_b32 v[7:8], v1, off
	global_store_b32 v[9:10], v4, off
	s_waitcnt vmcnt(0)
	global_store_b32 v[5:6], v11, off
	s_and_not1_b32 exec_lo, exec_lo, s12
	s_cbranch_execnz .LBB79_3
.LBB79_4:
	s_set_inst_prefetch_distance 0x2
	s_nop 0
	s_sendmsg sendmsg(MSG_DEALLOC_VGPRS)
	s_endpgm
	.section	.rodata,"a",@progbits
	.p2align	6, 0x0
	.amdhsa_kernel _ZN9rocsparseL18kernel_compute_cooILj1024ELj64EiiEEvT2_PKT1_S4_PKS1_21rocsparse_index_base_S4_PS1_S8_PS2_
		.amdhsa_group_segment_fixed_size 0
		.amdhsa_private_segment_fixed_size 0
		.amdhsa_kernarg_size 328
		.amdhsa_user_sgpr_count 15
		.amdhsa_user_sgpr_dispatch_ptr 0
		.amdhsa_user_sgpr_queue_ptr 0
		.amdhsa_user_sgpr_kernarg_segment_ptr 1
		.amdhsa_user_sgpr_dispatch_id 0
		.amdhsa_user_sgpr_private_segment_size 0
		.amdhsa_wavefront_size32 1
		.amdhsa_uses_dynamic_stack 0
		.amdhsa_enable_private_segment 0
		.amdhsa_system_sgpr_workgroup_id_x 1
		.amdhsa_system_sgpr_workgroup_id_y 0
		.amdhsa_system_sgpr_workgroup_id_z 0
		.amdhsa_system_sgpr_workgroup_info 0
		.amdhsa_system_vgpr_workitem_id 0
		.amdhsa_next_free_vgpr 12
		.amdhsa_next_free_sgpr 16
		.amdhsa_reserve_vcc 1
		.amdhsa_float_round_mode_32 0
		.amdhsa_float_round_mode_16_64 0
		.amdhsa_float_denorm_mode_32 3
		.amdhsa_float_denorm_mode_16_64 3
		.amdhsa_dx10_clamp 1
		.amdhsa_ieee_mode 1
		.amdhsa_fp16_overflow 0
		.amdhsa_workgroup_processor_mode 1
		.amdhsa_memory_ordered 1
		.amdhsa_forward_progress 0
		.amdhsa_shared_vgpr_count 0
		.amdhsa_exception_fp_ieee_invalid_op 0
		.amdhsa_exception_fp_denorm_src 0
		.amdhsa_exception_fp_ieee_div_zero 0
		.amdhsa_exception_fp_ieee_overflow 0
		.amdhsa_exception_fp_ieee_underflow 0
		.amdhsa_exception_fp_ieee_inexact 0
		.amdhsa_exception_int_div_zero 0
	.end_amdhsa_kernel
	.section	.text._ZN9rocsparseL18kernel_compute_cooILj1024ELj64EiiEEvT2_PKT1_S4_PKS1_21rocsparse_index_base_S4_PS1_S8_PS2_,"axG",@progbits,_ZN9rocsparseL18kernel_compute_cooILj1024ELj64EiiEEvT2_PKT1_S4_PKS1_21rocsparse_index_base_S4_PS1_S8_PS2_,comdat
.Lfunc_end79:
	.size	_ZN9rocsparseL18kernel_compute_cooILj1024ELj64EiiEEvT2_PKT1_S4_PKS1_21rocsparse_index_base_S4_PS1_S8_PS2_, .Lfunc_end79-_ZN9rocsparseL18kernel_compute_cooILj1024ELj64EiiEEvT2_PKT1_S4_PKS1_21rocsparse_index_base_S4_PS1_S8_PS2_
                                        ; -- End function
	.section	.AMDGPU.csdata,"",@progbits
; Kernel info:
; codeLenInByte = 440
; NumSgprs: 18
; NumVgprs: 12
; ScratchSize: 0
; MemoryBound: 0
; FloatMode: 240
; IeeeMode: 1
; LDSByteSize: 0 bytes/workgroup (compile time only)
; SGPRBlocks: 2
; VGPRBlocks: 1
; NumSGPRsForWavesPerEU: 18
; NumVGPRsForWavesPerEU: 12
; Occupancy: 16
; WaveLimiterHint : 1
; COMPUTE_PGM_RSRC2:SCRATCH_EN: 0
; COMPUTE_PGM_RSRC2:USER_SGPR: 15
; COMPUTE_PGM_RSRC2:TRAP_HANDLER: 0
; COMPUTE_PGM_RSRC2:TGID_X_EN: 1
; COMPUTE_PGM_RSRC2:TGID_Y_EN: 0
; COMPUTE_PGM_RSRC2:TGID_Z_EN: 0
; COMPUTE_PGM_RSRC2:TIDIG_COMP_CNT: 0
	.text
	.p2alignl 7, 3214868480
	.fill 96, 4, 3214868480
	.type	__hip_cuid_45b55e9fb7c4a6fa,@object ; @__hip_cuid_45b55e9fb7c4a6fa
	.section	.bss,"aw",@nobits
	.globl	__hip_cuid_45b55e9fb7c4a6fa
__hip_cuid_45b55e9fb7c4a6fa:
	.byte	0                               ; 0x0
	.size	__hip_cuid_45b55e9fb7c4a6fa, 1

	.ident	"AMD clang version 19.0.0git (https://github.com/RadeonOpenCompute/llvm-project roc-6.4.0 25133 c7fe45cf4b819c5991fe208aaa96edf142730f1d)"
	.section	".note.GNU-stack","",@progbits
	.addrsig
	.addrsig_sym __hip_cuid_45b55e9fb7c4a6fa
	.amdgpu_metadata
---
amdhsa.kernels:
  - .args:
      - .offset:         0
        .size:           4
        .value_kind:     by_value
      - .offset:         4
        .size:           4
        .value_kind:     by_value
      - .actual_access:  read_only
        .address_space:  global
        .offset:         8
        .size:           8
        .value_kind:     global_buffer
      - .actual_access:  read_only
        .address_space:  global
        .offset:         16
        .size:           8
        .value_kind:     global_buffer
      - .actual_access:  read_only
        .address_space:  global
        .offset:         24
        .size:           8
        .value_kind:     global_buffer
      - .offset:         32
        .size:           4
        .value_kind:     by_value
      - .actual_access:  read_only
        .address_space:  global
        .offset:         40
        .size:           8
        .value_kind:     global_buffer
      - .actual_access:  read_only
        .address_space:  global
        .offset:         48
        .size:           8
        .value_kind:     global_buffer
      - .actual_access:  read_only
        .address_space:  global
        .offset:         56
        .size:           8
        .value_kind:     global_buffer
      - .actual_access:  read_only
        .address_space:  global
        .offset:         64
        .size:           8
        .value_kind:     global_buffer
      - .actual_access:  read_only
        .address_space:  global
        .offset:         72
        .size:           8
        .value_kind:     global_buffer
      - .actual_access:  read_only
        .address_space:  global
        .offset:         80
        .size:           8
        .value_kind:     global_buffer
      - .actual_access:  read_only
        .address_space:  global
        .offset:         88
        .size:           8
        .value_kind:     global_buffer
      - .address_space:  global
        .offset:         96
        .size:           8
        .value_kind:     global_buffer
      - .address_space:  global
        .offset:         104
        .size:           8
        .value_kind:     global_buffer
      - .address_space:  global
        .offset:         112
        .size:           8
        .value_kind:     global_buffer
    .group_segment_fixed_size: 128
    .kernarg_segment_align: 8
    .kernarg_segment_size: 120
    .language:       OpenCL C
    .language_version:
      - 2
      - 0
    .max_flat_workgroup_size: 1024
    .name:           _ZN9rocsparseL20kernel_calculate_cooILi1024ELi32ELb1EfiiEEvT4_T3_PKS1_S4_PKT2_21rocsparse_index_base_PKS2_SA_S4_SA_SA_S4_SA_PS5_PNS_15floating_traitsIS5_E6data_tEPKSE_
    .private_segment_fixed_size: 0
    .sgpr_count:     39
    .sgpr_spill_count: 0
    .symbol:         _ZN9rocsparseL20kernel_calculate_cooILi1024ELi32ELb1EfiiEEvT4_T3_PKS1_S4_PKT2_21rocsparse_index_base_PKS2_SA_S4_SA_SA_S4_SA_PS5_PNS_15floating_traitsIS5_E6data_tEPKSE_.kd
    .uniform_work_group_size: 1
    .uses_dynamic_stack: false
    .vgpr_count:     25
    .vgpr_spill_count: 0
    .wavefront_size: 32
    .workgroup_processor_mode: 1
  - .args:
      - .offset:         0
        .size:           4
        .value_kind:     by_value
      - .offset:         4
        .size:           4
        .value_kind:     by_value
      - .actual_access:  read_only
        .address_space:  global
        .offset:         8
        .size:           8
        .value_kind:     global_buffer
      - .actual_access:  read_only
        .address_space:  global
        .offset:         16
        .size:           8
        .value_kind:     global_buffer
      - .actual_access:  read_only
        .address_space:  global
        .offset:         24
        .size:           8
        .value_kind:     global_buffer
      - .offset:         32
        .size:           4
        .value_kind:     by_value
      - .actual_access:  read_only
        .address_space:  global
        .offset:         40
        .size:           8
        .value_kind:     global_buffer
      - .actual_access:  read_only
        .address_space:  global
        .offset:         48
        .size:           8
        .value_kind:     global_buffer
      - .actual_access:  read_only
        .address_space:  global
        .offset:         56
        .size:           8
        .value_kind:     global_buffer
      - .actual_access:  read_only
        .address_space:  global
        .offset:         64
        .size:           8
        .value_kind:     global_buffer
      - .actual_access:  read_only
        .address_space:  global
        .offset:         72
        .size:           8
        .value_kind:     global_buffer
      - .actual_access:  read_only
        .address_space:  global
        .offset:         80
        .size:           8
        .value_kind:     global_buffer
      - .actual_access:  read_only
        .address_space:  global
        .offset:         88
        .size:           8
        .value_kind:     global_buffer
      - .address_space:  global
        .offset:         96
        .size:           8
        .value_kind:     global_buffer
      - .address_space:  global
        .offset:         104
        .size:           8
        .value_kind:     global_buffer
      - .address_space:  global
        .offset:         112
        .size:           8
        .value_kind:     global_buffer
    .group_segment_fixed_size: 64
    .kernarg_segment_align: 8
    .kernarg_segment_size: 120
    .language:       OpenCL C
    .language_version:
      - 2
      - 0
    .max_flat_workgroup_size: 1024
    .name:           _ZN9rocsparseL20kernel_calculate_cooILi1024ELi64ELb1EfiiEEvT4_T3_PKS1_S4_PKT2_21rocsparse_index_base_PKS2_SA_S4_SA_SA_S4_SA_PS5_PNS_15floating_traitsIS5_E6data_tEPKSE_
    .private_segment_fixed_size: 0
    .sgpr_count:     39
    .sgpr_spill_count: 0
    .symbol:         _ZN9rocsparseL20kernel_calculate_cooILi1024ELi64ELb1EfiiEEvT4_T3_PKS1_S4_PKT2_21rocsparse_index_base_PKS2_SA_S4_SA_SA_S4_SA_PS5_PNS_15floating_traitsIS5_E6data_tEPKSE_.kd
    .uniform_work_group_size: 1
    .uses_dynamic_stack: false
    .vgpr_count:     25
    .vgpr_spill_count: 0
    .wavefront_size: 32
    .workgroup_processor_mode: 1
  - .args:
      - .offset:         0
        .size:           4
        .value_kind:     by_value
      - .offset:         4
        .size:           4
        .value_kind:     by_value
      - .actual_access:  read_only
        .address_space:  global
        .offset:         8
        .size:           8
        .value_kind:     global_buffer
      - .actual_access:  read_only
        .address_space:  global
        .offset:         16
        .size:           8
        .value_kind:     global_buffer
      - .actual_access:  read_only
        .address_space:  global
        .offset:         24
        .size:           8
        .value_kind:     global_buffer
      - .actual_access:  read_only
        .address_space:  global
        .offset:         32
        .size:           8
        .value_kind:     global_buffer
      - .offset:         40
        .size:           4
        .value_kind:     by_value
      - .actual_access:  read_only
        .address_space:  global
        .offset:         48
        .size:           8
        .value_kind:     global_buffer
      - .actual_access:  read_only
        .address_space:  global
        .offset:         56
        .size:           8
        .value_kind:     global_buffer
      - .actual_access:  read_only
        .address_space:  global
        .offset:         64
        .size:           8
        .value_kind:     global_buffer
      - .actual_access:  read_only
        .address_space:  global
        .offset:         72
        .size:           8
        .value_kind:     global_buffer
      - .actual_access:  read_only
        .address_space:  global
        .offset:         80
        .size:           8
        .value_kind:     global_buffer
      - .actual_access:  read_only
        .address_space:  global
        .offset:         88
        .size:           8
        .value_kind:     global_buffer
      - .actual_access:  read_only
        .address_space:  global
        .offset:         96
        .size:           8
        .value_kind:     global_buffer
      - .address_space:  global
        .offset:         104
        .size:           8
        .value_kind:     global_buffer
      - .address_space:  global
        .offset:         112
        .size:           8
        .value_kind:     global_buffer
      - .address_space:  global
        .offset:         120
        .size:           8
        .value_kind:     global_buffer
    .group_segment_fixed_size: 4096
    .kernarg_segment_align: 8
    .kernarg_segment_size: 128
    .language:       OpenCL C
    .language_version:
      - 2
      - 0
    .max_flat_workgroup_size: 1024
    .name:           _ZN9rocsparseL16kernel_calculateILi1024ELi1ELb1EfiiEEvT4_T3_PKS2_S4_PKS1_PKT2_21rocsparse_index_base_S4_S4_S6_S4_S4_S6_S4_PS7_PNS_15floating_traitsIS7_E6data_tEPKSE_
    .private_segment_fixed_size: 0
    .sgpr_count:     34
    .sgpr_spill_count: 0
    .symbol:         _ZN9rocsparseL16kernel_calculateILi1024ELi1ELb1EfiiEEvT4_T3_PKS2_S4_PKS1_PKT2_21rocsparse_index_base_S4_S4_S6_S4_S4_S6_S4_PS7_PNS_15floating_traitsIS7_E6data_tEPKSE_.kd
    .uniform_work_group_size: 1
    .uses_dynamic_stack: false
    .vgpr_count:     28
    .vgpr_spill_count: 0
    .wavefront_size: 32
    .workgroup_processor_mode: 1
  - .args:
      - .offset:         0
        .size:           4
        .value_kind:     by_value
      - .offset:         4
        .size:           4
        .value_kind:     by_value
      - .actual_access:  read_only
        .address_space:  global
        .offset:         8
        .size:           8
        .value_kind:     global_buffer
      - .actual_access:  read_only
        .address_space:  global
        .offset:         16
        .size:           8
        .value_kind:     global_buffer
      - .actual_access:  read_only
        .address_space:  global
        .offset:         24
        .size:           8
        .value_kind:     global_buffer
      - .actual_access:  read_only
        .address_space:  global
        .offset:         32
        .size:           8
        .value_kind:     global_buffer
      - .offset:         40
        .size:           4
        .value_kind:     by_value
      - .actual_access:  read_only
        .address_space:  global
        .offset:         48
        .size:           8
        .value_kind:     global_buffer
      - .actual_access:  read_only
        .address_space:  global
        .offset:         56
        .size:           8
        .value_kind:     global_buffer
      - .actual_access:  read_only
        .address_space:  global
        .offset:         64
        .size:           8
        .value_kind:     global_buffer
      - .actual_access:  read_only
        .address_space:  global
        .offset:         72
        .size:           8
        .value_kind:     global_buffer
      - .actual_access:  read_only
        .address_space:  global
        .offset:         80
        .size:           8
        .value_kind:     global_buffer
      - .actual_access:  read_only
        .address_space:  global
        .offset:         88
        .size:           8
        .value_kind:     global_buffer
      - .actual_access:  read_only
        .address_space:  global
        .offset:         96
        .size:           8
        .value_kind:     global_buffer
      - .address_space:  global
        .offset:         104
        .size:           8
        .value_kind:     global_buffer
      - .address_space:  global
        .offset:         112
        .size:           8
        .value_kind:     global_buffer
      - .address_space:  global
        .offset:         120
        .size:           8
        .value_kind:     global_buffer
    .group_segment_fixed_size: 2048
    .kernarg_segment_align: 8
    .kernarg_segment_size: 128
    .language:       OpenCL C
    .language_version:
      - 2
      - 0
    .max_flat_workgroup_size: 1024
    .name:           _ZN9rocsparseL16kernel_calculateILi1024ELi2ELb1EfiiEEvT4_T3_PKS2_S4_PKS1_PKT2_21rocsparse_index_base_S4_S4_S6_S4_S4_S6_S4_PS7_PNS_15floating_traitsIS7_E6data_tEPKSE_
    .private_segment_fixed_size: 0
    .sgpr_count:     38
    .sgpr_spill_count: 0
    .symbol:         _ZN9rocsparseL16kernel_calculateILi1024ELi2ELb1EfiiEEvT4_T3_PKS2_S4_PKS1_PKT2_21rocsparse_index_base_S4_S4_S6_S4_S4_S6_S4_PS7_PNS_15floating_traitsIS7_E6data_tEPKSE_.kd
    .uniform_work_group_size: 1
    .uses_dynamic_stack: false
    .vgpr_count:     37
    .vgpr_spill_count: 0
    .wavefront_size: 32
    .workgroup_processor_mode: 1
  - .args:
      - .offset:         0
        .size:           4
        .value_kind:     by_value
      - .offset:         4
        .size:           4
        .value_kind:     by_value
      - .actual_access:  read_only
        .address_space:  global
        .offset:         8
        .size:           8
        .value_kind:     global_buffer
      - .actual_access:  read_only
        .address_space:  global
        .offset:         16
        .size:           8
        .value_kind:     global_buffer
      - .actual_access:  read_only
        .address_space:  global
        .offset:         24
        .size:           8
        .value_kind:     global_buffer
      - .actual_access:  read_only
        .address_space:  global
        .offset:         32
        .size:           8
        .value_kind:     global_buffer
      - .offset:         40
        .size:           4
        .value_kind:     by_value
      - .actual_access:  read_only
        .address_space:  global
        .offset:         48
        .size:           8
        .value_kind:     global_buffer
      - .actual_access:  read_only
        .address_space:  global
        .offset:         56
        .size:           8
        .value_kind:     global_buffer
      - .actual_access:  read_only
        .address_space:  global
        .offset:         64
        .size:           8
        .value_kind:     global_buffer
      - .actual_access:  read_only
        .address_space:  global
        .offset:         72
        .size:           8
        .value_kind:     global_buffer
      - .actual_access:  read_only
        .address_space:  global
        .offset:         80
        .size:           8
        .value_kind:     global_buffer
      - .actual_access:  read_only
        .address_space:  global
        .offset:         88
        .size:           8
        .value_kind:     global_buffer
      - .actual_access:  read_only
        .address_space:  global
        .offset:         96
        .size:           8
        .value_kind:     global_buffer
      - .address_space:  global
        .offset:         104
        .size:           8
        .value_kind:     global_buffer
      - .address_space:  global
        .offset:         112
        .size:           8
        .value_kind:     global_buffer
      - .address_space:  global
        .offset:         120
        .size:           8
        .value_kind:     global_buffer
    .group_segment_fixed_size: 1024
    .kernarg_segment_align: 8
    .kernarg_segment_size: 128
    .language:       OpenCL C
    .language_version:
      - 2
      - 0
    .max_flat_workgroup_size: 1024
    .name:           _ZN9rocsparseL16kernel_calculateILi1024ELi4ELb1EfiiEEvT4_T3_PKS2_S4_PKS1_PKT2_21rocsparse_index_base_S4_S4_S6_S4_S4_S6_S4_PS7_PNS_15floating_traitsIS7_E6data_tEPKSE_
    .private_segment_fixed_size: 0
    .sgpr_count:     44
    .sgpr_spill_count: 0
    .symbol:         _ZN9rocsparseL16kernel_calculateILi1024ELi4ELb1EfiiEEvT4_T3_PKS2_S4_PKS1_PKT2_21rocsparse_index_base_S4_S4_S6_S4_S4_S6_S4_PS7_PNS_15floating_traitsIS7_E6data_tEPKSE_.kd
    .uniform_work_group_size: 1
    .uses_dynamic_stack: false
    .vgpr_count:     32
    .vgpr_spill_count: 0
    .wavefront_size: 32
    .workgroup_processor_mode: 1
  - .args:
      - .offset:         0
        .size:           4
        .value_kind:     by_value
      - .offset:         4
        .size:           4
        .value_kind:     by_value
      - .actual_access:  read_only
        .address_space:  global
        .offset:         8
        .size:           8
        .value_kind:     global_buffer
      - .actual_access:  read_only
        .address_space:  global
        .offset:         16
        .size:           8
        .value_kind:     global_buffer
      - .actual_access:  read_only
        .address_space:  global
        .offset:         24
        .size:           8
        .value_kind:     global_buffer
      - .actual_access:  read_only
        .address_space:  global
        .offset:         32
        .size:           8
        .value_kind:     global_buffer
      - .offset:         40
        .size:           4
        .value_kind:     by_value
      - .actual_access:  read_only
        .address_space:  global
        .offset:         48
        .size:           8
        .value_kind:     global_buffer
      - .actual_access:  read_only
        .address_space:  global
        .offset:         56
        .size:           8
        .value_kind:     global_buffer
      - .actual_access:  read_only
        .address_space:  global
        .offset:         64
        .size:           8
        .value_kind:     global_buffer
      - .actual_access:  read_only
        .address_space:  global
        .offset:         72
        .size:           8
        .value_kind:     global_buffer
      - .actual_access:  read_only
        .address_space:  global
        .offset:         80
        .size:           8
        .value_kind:     global_buffer
      - .actual_access:  read_only
        .address_space:  global
        .offset:         88
        .size:           8
        .value_kind:     global_buffer
      - .actual_access:  read_only
        .address_space:  global
        .offset:         96
        .size:           8
        .value_kind:     global_buffer
      - .address_space:  global
        .offset:         104
        .size:           8
        .value_kind:     global_buffer
      - .address_space:  global
        .offset:         112
        .size:           8
        .value_kind:     global_buffer
      - .address_space:  global
        .offset:         120
        .size:           8
        .value_kind:     global_buffer
    .group_segment_fixed_size: 512
    .kernarg_segment_align: 8
    .kernarg_segment_size: 128
    .language:       OpenCL C
    .language_version:
      - 2
      - 0
    .max_flat_workgroup_size: 1024
    .name:           _ZN9rocsparseL16kernel_calculateILi1024ELi8ELb1EfiiEEvT4_T3_PKS2_S4_PKS1_PKT2_21rocsparse_index_base_S4_S4_S6_S4_S4_S6_S4_PS7_PNS_15floating_traitsIS7_E6data_tEPKSE_
    .private_segment_fixed_size: 0
    .sgpr_count:     44
    .sgpr_spill_count: 0
    .symbol:         _ZN9rocsparseL16kernel_calculateILi1024ELi8ELb1EfiiEEvT4_T3_PKS2_S4_PKS1_PKT2_21rocsparse_index_base_S4_S4_S6_S4_S4_S6_S4_PS7_PNS_15floating_traitsIS7_E6data_tEPKSE_.kd
    .uniform_work_group_size: 1
    .uses_dynamic_stack: false
    .vgpr_count:     32
    .vgpr_spill_count: 0
    .wavefront_size: 32
    .workgroup_processor_mode: 1
  - .args:
      - .offset:         0
        .size:           4
        .value_kind:     by_value
      - .offset:         4
        .size:           4
        .value_kind:     by_value
      - .actual_access:  read_only
        .address_space:  global
        .offset:         8
        .size:           8
        .value_kind:     global_buffer
      - .actual_access:  read_only
        .address_space:  global
        .offset:         16
        .size:           8
        .value_kind:     global_buffer
      - .actual_access:  read_only
        .address_space:  global
        .offset:         24
        .size:           8
        .value_kind:     global_buffer
      - .actual_access:  read_only
        .address_space:  global
        .offset:         32
        .size:           8
        .value_kind:     global_buffer
      - .offset:         40
        .size:           4
        .value_kind:     by_value
      - .actual_access:  read_only
        .address_space:  global
        .offset:         48
        .size:           8
        .value_kind:     global_buffer
      - .actual_access:  read_only
        .address_space:  global
        .offset:         56
        .size:           8
        .value_kind:     global_buffer
      - .actual_access:  read_only
        .address_space:  global
        .offset:         64
        .size:           8
        .value_kind:     global_buffer
      - .actual_access:  read_only
        .address_space:  global
        .offset:         72
        .size:           8
        .value_kind:     global_buffer
      - .actual_access:  read_only
        .address_space:  global
        .offset:         80
        .size:           8
        .value_kind:     global_buffer
      - .actual_access:  read_only
        .address_space:  global
        .offset:         88
        .size:           8
        .value_kind:     global_buffer
      - .actual_access:  read_only
        .address_space:  global
        .offset:         96
        .size:           8
        .value_kind:     global_buffer
      - .address_space:  global
        .offset:         104
        .size:           8
        .value_kind:     global_buffer
      - .address_space:  global
        .offset:         112
        .size:           8
        .value_kind:     global_buffer
      - .address_space:  global
        .offset:         120
        .size:           8
        .value_kind:     global_buffer
    .group_segment_fixed_size: 256
    .kernarg_segment_align: 8
    .kernarg_segment_size: 128
    .language:       OpenCL C
    .language_version:
      - 2
      - 0
    .max_flat_workgroup_size: 1024
    .name:           _ZN9rocsparseL16kernel_calculateILi1024ELi16ELb1EfiiEEvT4_T3_PKS2_S4_PKS1_PKT2_21rocsparse_index_base_S4_S4_S6_S4_S4_S6_S4_PS7_PNS_15floating_traitsIS7_E6data_tEPKSE_
    .private_segment_fixed_size: 0
    .sgpr_count:     44
    .sgpr_spill_count: 0
    .symbol:         _ZN9rocsparseL16kernel_calculateILi1024ELi16ELb1EfiiEEvT4_T3_PKS2_S4_PKS1_PKT2_21rocsparse_index_base_S4_S4_S6_S4_S4_S6_S4_PS7_PNS_15floating_traitsIS7_E6data_tEPKSE_.kd
    .uniform_work_group_size: 1
    .uses_dynamic_stack: false
    .vgpr_count:     32
    .vgpr_spill_count: 0
    .wavefront_size: 32
    .workgroup_processor_mode: 1
  - .args:
      - .offset:         0
        .size:           4
        .value_kind:     by_value
      - .offset:         4
        .size:           4
        .value_kind:     by_value
      - .actual_access:  read_only
        .address_space:  global
        .offset:         8
        .size:           8
        .value_kind:     global_buffer
      - .actual_access:  read_only
        .address_space:  global
        .offset:         16
        .size:           8
        .value_kind:     global_buffer
      - .actual_access:  read_only
        .address_space:  global
        .offset:         24
        .size:           8
        .value_kind:     global_buffer
      - .actual_access:  read_only
        .address_space:  global
        .offset:         32
        .size:           8
        .value_kind:     global_buffer
      - .offset:         40
        .size:           4
        .value_kind:     by_value
      - .actual_access:  read_only
        .address_space:  global
        .offset:         48
        .size:           8
        .value_kind:     global_buffer
      - .actual_access:  read_only
        .address_space:  global
        .offset:         56
        .size:           8
        .value_kind:     global_buffer
      - .actual_access:  read_only
        .address_space:  global
        .offset:         64
        .size:           8
        .value_kind:     global_buffer
      - .actual_access:  read_only
        .address_space:  global
        .offset:         72
        .size:           8
        .value_kind:     global_buffer
      - .actual_access:  read_only
        .address_space:  global
        .offset:         80
        .size:           8
        .value_kind:     global_buffer
      - .actual_access:  read_only
        .address_space:  global
        .offset:         88
        .size:           8
        .value_kind:     global_buffer
      - .actual_access:  read_only
        .address_space:  global
        .offset:         96
        .size:           8
        .value_kind:     global_buffer
      - .address_space:  global
        .offset:         104
        .size:           8
        .value_kind:     global_buffer
      - .address_space:  global
        .offset:         112
        .size:           8
        .value_kind:     global_buffer
      - .address_space:  global
        .offset:         120
        .size:           8
        .value_kind:     global_buffer
    .group_segment_fixed_size: 128
    .kernarg_segment_align: 8
    .kernarg_segment_size: 128
    .language:       OpenCL C
    .language_version:
      - 2
      - 0
    .max_flat_workgroup_size: 1024
    .name:           _ZN9rocsparseL16kernel_calculateILi1024ELi32ELb1EfiiEEvT4_T3_PKS2_S4_PKS1_PKT2_21rocsparse_index_base_S4_S4_S6_S4_S4_S6_S4_PS7_PNS_15floating_traitsIS7_E6data_tEPKSE_
    .private_segment_fixed_size: 0
    .sgpr_count:     44
    .sgpr_spill_count: 0
    .symbol:         _ZN9rocsparseL16kernel_calculateILi1024ELi32ELb1EfiiEEvT4_T3_PKS2_S4_PKS1_PKT2_21rocsparse_index_base_S4_S4_S6_S4_S4_S6_S4_PS7_PNS_15floating_traitsIS7_E6data_tEPKSE_.kd
    .uniform_work_group_size: 1
    .uses_dynamic_stack: false
    .vgpr_count:     32
    .vgpr_spill_count: 0
    .wavefront_size: 32
    .workgroup_processor_mode: 1
  - .args:
      - .offset:         0
        .size:           4
        .value_kind:     by_value
      - .offset:         4
        .size:           4
        .value_kind:     by_value
      - .actual_access:  read_only
        .address_space:  global
        .offset:         8
        .size:           8
        .value_kind:     global_buffer
      - .actual_access:  read_only
        .address_space:  global
        .offset:         16
        .size:           8
        .value_kind:     global_buffer
      - .actual_access:  read_only
        .address_space:  global
        .offset:         24
        .size:           8
        .value_kind:     global_buffer
      - .actual_access:  read_only
        .address_space:  global
        .offset:         32
        .size:           8
        .value_kind:     global_buffer
      - .offset:         40
        .size:           4
        .value_kind:     by_value
      - .actual_access:  read_only
        .address_space:  global
        .offset:         48
        .size:           8
        .value_kind:     global_buffer
      - .actual_access:  read_only
        .address_space:  global
        .offset:         56
        .size:           8
        .value_kind:     global_buffer
      - .actual_access:  read_only
        .address_space:  global
        .offset:         64
        .size:           8
        .value_kind:     global_buffer
      - .actual_access:  read_only
        .address_space:  global
        .offset:         72
        .size:           8
        .value_kind:     global_buffer
      - .actual_access:  read_only
        .address_space:  global
        .offset:         80
        .size:           8
        .value_kind:     global_buffer
      - .actual_access:  read_only
        .address_space:  global
        .offset:         88
        .size:           8
        .value_kind:     global_buffer
      - .actual_access:  read_only
        .address_space:  global
        .offset:         96
        .size:           8
        .value_kind:     global_buffer
      - .address_space:  global
        .offset:         104
        .size:           8
        .value_kind:     global_buffer
      - .address_space:  global
        .offset:         112
        .size:           8
        .value_kind:     global_buffer
      - .address_space:  global
        .offset:         120
        .size:           8
        .value_kind:     global_buffer
    .group_segment_fixed_size: 64
    .kernarg_segment_align: 8
    .kernarg_segment_size: 128
    .language:       OpenCL C
    .language_version:
      - 2
      - 0
    .max_flat_workgroup_size: 1024
    .name:           _ZN9rocsparseL16kernel_calculateILi1024ELi64ELb1EfiiEEvT4_T3_PKS2_S4_PKS1_PKT2_21rocsparse_index_base_S4_S4_S6_S4_S4_S6_S4_PS7_PNS_15floating_traitsIS7_E6data_tEPKSE_
    .private_segment_fixed_size: 0
    .sgpr_count:     44
    .sgpr_spill_count: 0
    .symbol:         _ZN9rocsparseL16kernel_calculateILi1024ELi64ELb1EfiiEEvT4_T3_PKS2_S4_PKS1_PKT2_21rocsparse_index_base_S4_S4_S6_S4_S4_S6_S4_PS7_PNS_15floating_traitsIS7_E6data_tEPKSE_.kd
    .uniform_work_group_size: 1
    .uses_dynamic_stack: false
    .vgpr_count:     32
    .vgpr_spill_count: 0
    .wavefront_size: 32
    .workgroup_processor_mode: 1
  - .args:
      - .offset:         0
        .size:           4
        .value_kind:     by_value
      - .offset:         4
        .size:           4
        .value_kind:     by_value
      - .actual_access:  read_only
        .address_space:  global
        .offset:         8
        .size:           8
        .value_kind:     global_buffer
      - .actual_access:  read_only
        .address_space:  global
        .offset:         16
        .size:           8
        .value_kind:     global_buffer
      - .actual_access:  read_only
        .address_space:  global
        .offset:         24
        .size:           8
        .value_kind:     global_buffer
      - .actual_access:  read_only
        .address_space:  global
        .offset:         32
        .size:           8
        .value_kind:     global_buffer
      - .offset:         40
        .size:           4
        .value_kind:     by_value
      - .actual_access:  read_only
        .address_space:  global
        .offset:         48
        .size:           8
        .value_kind:     global_buffer
      - .actual_access:  read_only
        .address_space:  global
        .offset:         56
        .size:           8
        .value_kind:     global_buffer
      - .actual_access:  read_only
        .address_space:  global
        .offset:         64
        .size:           8
        .value_kind:     global_buffer
      - .actual_access:  read_only
        .address_space:  global
        .offset:         72
        .size:           8
        .value_kind:     global_buffer
      - .actual_access:  read_only
        .address_space:  global
        .offset:         80
        .size:           8
        .value_kind:     global_buffer
      - .actual_access:  read_only
        .address_space:  global
        .offset:         88
        .size:           8
        .value_kind:     global_buffer
      - .actual_access:  read_only
        .address_space:  global
        .offset:         96
        .size:           8
        .value_kind:     global_buffer
      - .address_space:  global
        .offset:         104
        .size:           8
        .value_kind:     global_buffer
      - .address_space:  global
        .offset:         112
        .size:           8
        .value_kind:     global_buffer
      - .address_space:  global
        .offset:         120
        .size:           8
        .value_kind:     global_buffer
    .group_segment_fixed_size: 0
    .kernarg_segment_align: 8
    .kernarg_segment_size: 128
    .language:       OpenCL C
    .language_version:
      - 2
      - 0
    .max_flat_workgroup_size: 1024
    .name:           _ZN9rocsparseL16kernel_calculateILi1024ELi1ELb0EfiiEEvT4_T3_PKS2_S4_PKS1_PKT2_21rocsparse_index_base_S4_S4_S6_S4_S4_S6_S4_PS7_PNS_15floating_traitsIS7_E6data_tEPKSE_
    .private_segment_fixed_size: 0
    .sgpr_count:     26
    .sgpr_spill_count: 0
    .symbol:         _ZN9rocsparseL16kernel_calculateILi1024ELi1ELb0EfiiEEvT4_T3_PKS2_S4_PKS1_PKT2_21rocsparse_index_base_S4_S4_S6_S4_S4_S6_S4_PS7_PNS_15floating_traitsIS7_E6data_tEPKSE_.kd
    .uniform_work_group_size: 1
    .uses_dynamic_stack: false
    .vgpr_count:     23
    .vgpr_spill_count: 0
    .wavefront_size: 32
    .workgroup_processor_mode: 1
  - .args:
      - .offset:         0
        .size:           4
        .value_kind:     by_value
      - .offset:         4
        .size:           4
        .value_kind:     by_value
      - .actual_access:  read_only
        .address_space:  global
        .offset:         8
        .size:           8
        .value_kind:     global_buffer
      - .actual_access:  read_only
        .address_space:  global
        .offset:         16
        .size:           8
        .value_kind:     global_buffer
      - .actual_access:  read_only
        .address_space:  global
        .offset:         24
        .size:           8
        .value_kind:     global_buffer
      - .actual_access:  read_only
        .address_space:  global
        .offset:         32
        .size:           8
        .value_kind:     global_buffer
      - .offset:         40
        .size:           4
        .value_kind:     by_value
      - .actual_access:  read_only
        .address_space:  global
        .offset:         48
        .size:           8
        .value_kind:     global_buffer
      - .actual_access:  read_only
        .address_space:  global
        .offset:         56
        .size:           8
        .value_kind:     global_buffer
      - .actual_access:  read_only
        .address_space:  global
        .offset:         64
        .size:           8
        .value_kind:     global_buffer
      - .actual_access:  read_only
        .address_space:  global
        .offset:         72
        .size:           8
        .value_kind:     global_buffer
      - .actual_access:  read_only
        .address_space:  global
        .offset:         80
        .size:           8
        .value_kind:     global_buffer
      - .actual_access:  read_only
        .address_space:  global
        .offset:         88
        .size:           8
        .value_kind:     global_buffer
      - .actual_access:  read_only
        .address_space:  global
        .offset:         96
        .size:           8
        .value_kind:     global_buffer
      - .address_space:  global
        .offset:         104
        .size:           8
        .value_kind:     global_buffer
      - .address_space:  global
        .offset:         112
        .size:           8
        .value_kind:     global_buffer
      - .address_space:  global
        .offset:         120
        .size:           8
        .value_kind:     global_buffer
    .group_segment_fixed_size: 0
    .kernarg_segment_align: 8
    .kernarg_segment_size: 128
    .language:       OpenCL C
    .language_version:
      - 2
      - 0
    .max_flat_workgroup_size: 1024
    .name:           _ZN9rocsparseL16kernel_calculateILi1024ELi2ELb0EfiiEEvT4_T3_PKS2_S4_PKS1_PKT2_21rocsparse_index_base_S4_S4_S6_S4_S4_S6_S4_PS7_PNS_15floating_traitsIS7_E6data_tEPKSE_
    .private_segment_fixed_size: 0
    .sgpr_count:     30
    .sgpr_spill_count: 0
    .symbol:         _ZN9rocsparseL16kernel_calculateILi1024ELi2ELb0EfiiEEvT4_T3_PKS2_S4_PKS1_PKT2_21rocsparse_index_base_S4_S4_S6_S4_S4_S6_S4_PS7_PNS_15floating_traitsIS7_E6data_tEPKSE_.kd
    .uniform_work_group_size: 1
    .uses_dynamic_stack: false
    .vgpr_count:     30
    .vgpr_spill_count: 0
    .wavefront_size: 32
    .workgroup_processor_mode: 1
  - .args:
      - .offset:         0
        .size:           4
        .value_kind:     by_value
      - .offset:         4
        .size:           4
        .value_kind:     by_value
      - .actual_access:  read_only
        .address_space:  global
        .offset:         8
        .size:           8
        .value_kind:     global_buffer
      - .actual_access:  read_only
        .address_space:  global
        .offset:         16
        .size:           8
        .value_kind:     global_buffer
      - .actual_access:  read_only
        .address_space:  global
        .offset:         24
        .size:           8
        .value_kind:     global_buffer
      - .actual_access:  read_only
        .address_space:  global
        .offset:         32
        .size:           8
        .value_kind:     global_buffer
      - .offset:         40
        .size:           4
        .value_kind:     by_value
      - .actual_access:  read_only
        .address_space:  global
        .offset:         48
        .size:           8
        .value_kind:     global_buffer
      - .actual_access:  read_only
        .address_space:  global
        .offset:         56
        .size:           8
        .value_kind:     global_buffer
      - .actual_access:  read_only
        .address_space:  global
        .offset:         64
        .size:           8
        .value_kind:     global_buffer
      - .actual_access:  read_only
        .address_space:  global
        .offset:         72
        .size:           8
        .value_kind:     global_buffer
      - .actual_access:  read_only
        .address_space:  global
        .offset:         80
        .size:           8
        .value_kind:     global_buffer
      - .actual_access:  read_only
        .address_space:  global
        .offset:         88
        .size:           8
        .value_kind:     global_buffer
      - .actual_access:  read_only
        .address_space:  global
        .offset:         96
        .size:           8
        .value_kind:     global_buffer
      - .address_space:  global
        .offset:         104
        .size:           8
        .value_kind:     global_buffer
      - .address_space:  global
        .offset:         112
        .size:           8
        .value_kind:     global_buffer
      - .address_space:  global
        .offset:         120
        .size:           8
        .value_kind:     global_buffer
    .group_segment_fixed_size: 0
    .kernarg_segment_align: 8
    .kernarg_segment_size: 128
    .language:       OpenCL C
    .language_version:
      - 2
      - 0
    .max_flat_workgroup_size: 1024
    .name:           _ZN9rocsparseL16kernel_calculateILi1024ELi4ELb0EfiiEEvT4_T3_PKS2_S4_PKS1_PKT2_21rocsparse_index_base_S4_S4_S6_S4_S4_S6_S4_PS7_PNS_15floating_traitsIS7_E6data_tEPKSE_
    .private_segment_fixed_size: 0
    .sgpr_count:     36
    .sgpr_spill_count: 0
    .symbol:         _ZN9rocsparseL16kernel_calculateILi1024ELi4ELb0EfiiEEvT4_T3_PKS2_S4_PKS1_PKT2_21rocsparse_index_base_S4_S4_S6_S4_S4_S6_S4_PS7_PNS_15floating_traitsIS7_E6data_tEPKSE_.kd
    .uniform_work_group_size: 1
    .uses_dynamic_stack: false
    .vgpr_count:     25
    .vgpr_spill_count: 0
    .wavefront_size: 32
    .workgroup_processor_mode: 1
  - .args:
      - .offset:         0
        .size:           4
        .value_kind:     by_value
      - .offset:         4
        .size:           4
        .value_kind:     by_value
      - .actual_access:  read_only
        .address_space:  global
        .offset:         8
        .size:           8
        .value_kind:     global_buffer
      - .actual_access:  read_only
        .address_space:  global
        .offset:         16
        .size:           8
        .value_kind:     global_buffer
      - .actual_access:  read_only
        .address_space:  global
        .offset:         24
        .size:           8
        .value_kind:     global_buffer
      - .actual_access:  read_only
        .address_space:  global
        .offset:         32
        .size:           8
        .value_kind:     global_buffer
      - .offset:         40
        .size:           4
        .value_kind:     by_value
      - .actual_access:  read_only
        .address_space:  global
        .offset:         48
        .size:           8
        .value_kind:     global_buffer
      - .actual_access:  read_only
        .address_space:  global
        .offset:         56
        .size:           8
        .value_kind:     global_buffer
      - .actual_access:  read_only
        .address_space:  global
        .offset:         64
        .size:           8
        .value_kind:     global_buffer
      - .actual_access:  read_only
        .address_space:  global
        .offset:         72
        .size:           8
        .value_kind:     global_buffer
      - .actual_access:  read_only
        .address_space:  global
        .offset:         80
        .size:           8
        .value_kind:     global_buffer
      - .actual_access:  read_only
        .address_space:  global
        .offset:         88
        .size:           8
        .value_kind:     global_buffer
      - .actual_access:  read_only
        .address_space:  global
        .offset:         96
        .size:           8
        .value_kind:     global_buffer
      - .address_space:  global
        .offset:         104
        .size:           8
        .value_kind:     global_buffer
      - .address_space:  global
        .offset:         112
        .size:           8
        .value_kind:     global_buffer
      - .address_space:  global
        .offset:         120
        .size:           8
        .value_kind:     global_buffer
    .group_segment_fixed_size: 0
    .kernarg_segment_align: 8
    .kernarg_segment_size: 128
    .language:       OpenCL C
    .language_version:
      - 2
      - 0
    .max_flat_workgroup_size: 1024
    .name:           _ZN9rocsparseL16kernel_calculateILi1024ELi8ELb0EfiiEEvT4_T3_PKS2_S4_PKS1_PKT2_21rocsparse_index_base_S4_S4_S6_S4_S4_S6_S4_PS7_PNS_15floating_traitsIS7_E6data_tEPKSE_
    .private_segment_fixed_size: 0
    .sgpr_count:     36
    .sgpr_spill_count: 0
    .symbol:         _ZN9rocsparseL16kernel_calculateILi1024ELi8ELb0EfiiEEvT4_T3_PKS2_S4_PKS1_PKT2_21rocsparse_index_base_S4_S4_S6_S4_S4_S6_S4_PS7_PNS_15floating_traitsIS7_E6data_tEPKSE_.kd
    .uniform_work_group_size: 1
    .uses_dynamic_stack: false
    .vgpr_count:     25
    .vgpr_spill_count: 0
    .wavefront_size: 32
    .workgroup_processor_mode: 1
  - .args:
      - .offset:         0
        .size:           4
        .value_kind:     by_value
      - .offset:         4
        .size:           4
        .value_kind:     by_value
      - .actual_access:  read_only
        .address_space:  global
        .offset:         8
        .size:           8
        .value_kind:     global_buffer
      - .actual_access:  read_only
        .address_space:  global
        .offset:         16
        .size:           8
        .value_kind:     global_buffer
      - .actual_access:  read_only
        .address_space:  global
        .offset:         24
        .size:           8
        .value_kind:     global_buffer
      - .actual_access:  read_only
        .address_space:  global
        .offset:         32
        .size:           8
        .value_kind:     global_buffer
      - .offset:         40
        .size:           4
        .value_kind:     by_value
      - .actual_access:  read_only
        .address_space:  global
        .offset:         48
        .size:           8
        .value_kind:     global_buffer
      - .actual_access:  read_only
        .address_space:  global
        .offset:         56
        .size:           8
        .value_kind:     global_buffer
      - .actual_access:  read_only
        .address_space:  global
        .offset:         64
        .size:           8
        .value_kind:     global_buffer
      - .actual_access:  read_only
        .address_space:  global
        .offset:         72
        .size:           8
        .value_kind:     global_buffer
      - .actual_access:  read_only
        .address_space:  global
        .offset:         80
        .size:           8
        .value_kind:     global_buffer
      - .actual_access:  read_only
        .address_space:  global
        .offset:         88
        .size:           8
        .value_kind:     global_buffer
      - .actual_access:  read_only
        .address_space:  global
        .offset:         96
        .size:           8
        .value_kind:     global_buffer
      - .address_space:  global
        .offset:         104
        .size:           8
        .value_kind:     global_buffer
      - .address_space:  global
        .offset:         112
        .size:           8
        .value_kind:     global_buffer
      - .address_space:  global
        .offset:         120
        .size:           8
        .value_kind:     global_buffer
    .group_segment_fixed_size: 0
    .kernarg_segment_align: 8
    .kernarg_segment_size: 128
    .language:       OpenCL C
    .language_version:
      - 2
      - 0
    .max_flat_workgroup_size: 1024
    .name:           _ZN9rocsparseL16kernel_calculateILi1024ELi16ELb0EfiiEEvT4_T3_PKS2_S4_PKS1_PKT2_21rocsparse_index_base_S4_S4_S6_S4_S4_S6_S4_PS7_PNS_15floating_traitsIS7_E6data_tEPKSE_
    .private_segment_fixed_size: 0
    .sgpr_count:     36
    .sgpr_spill_count: 0
    .symbol:         _ZN9rocsparseL16kernel_calculateILi1024ELi16ELb0EfiiEEvT4_T3_PKS2_S4_PKS1_PKT2_21rocsparse_index_base_S4_S4_S6_S4_S4_S6_S4_PS7_PNS_15floating_traitsIS7_E6data_tEPKSE_.kd
    .uniform_work_group_size: 1
    .uses_dynamic_stack: false
    .vgpr_count:     25
    .vgpr_spill_count: 0
    .wavefront_size: 32
    .workgroup_processor_mode: 1
  - .args:
      - .offset:         0
        .size:           4
        .value_kind:     by_value
      - .offset:         4
        .size:           4
        .value_kind:     by_value
      - .actual_access:  read_only
        .address_space:  global
        .offset:         8
        .size:           8
        .value_kind:     global_buffer
      - .actual_access:  read_only
        .address_space:  global
        .offset:         16
        .size:           8
        .value_kind:     global_buffer
      - .actual_access:  read_only
        .address_space:  global
        .offset:         24
        .size:           8
        .value_kind:     global_buffer
      - .actual_access:  read_only
        .address_space:  global
        .offset:         32
        .size:           8
        .value_kind:     global_buffer
      - .offset:         40
        .size:           4
        .value_kind:     by_value
      - .actual_access:  read_only
        .address_space:  global
        .offset:         48
        .size:           8
        .value_kind:     global_buffer
      - .actual_access:  read_only
        .address_space:  global
        .offset:         56
        .size:           8
        .value_kind:     global_buffer
      - .actual_access:  read_only
        .address_space:  global
        .offset:         64
        .size:           8
        .value_kind:     global_buffer
      - .actual_access:  read_only
        .address_space:  global
        .offset:         72
        .size:           8
        .value_kind:     global_buffer
      - .actual_access:  read_only
        .address_space:  global
        .offset:         80
        .size:           8
        .value_kind:     global_buffer
      - .actual_access:  read_only
        .address_space:  global
        .offset:         88
        .size:           8
        .value_kind:     global_buffer
      - .actual_access:  read_only
        .address_space:  global
        .offset:         96
        .size:           8
        .value_kind:     global_buffer
      - .address_space:  global
        .offset:         104
        .size:           8
        .value_kind:     global_buffer
      - .address_space:  global
        .offset:         112
        .size:           8
        .value_kind:     global_buffer
      - .address_space:  global
        .offset:         120
        .size:           8
        .value_kind:     global_buffer
    .group_segment_fixed_size: 0
    .kernarg_segment_align: 8
    .kernarg_segment_size: 128
    .language:       OpenCL C
    .language_version:
      - 2
      - 0
    .max_flat_workgroup_size: 1024
    .name:           _ZN9rocsparseL16kernel_calculateILi1024ELi32ELb0EfiiEEvT4_T3_PKS2_S4_PKS1_PKT2_21rocsparse_index_base_S4_S4_S6_S4_S4_S6_S4_PS7_PNS_15floating_traitsIS7_E6data_tEPKSE_
    .private_segment_fixed_size: 0
    .sgpr_count:     36
    .sgpr_spill_count: 0
    .symbol:         _ZN9rocsparseL16kernel_calculateILi1024ELi32ELb0EfiiEEvT4_T3_PKS2_S4_PKS1_PKT2_21rocsparse_index_base_S4_S4_S6_S4_S4_S6_S4_PS7_PNS_15floating_traitsIS7_E6data_tEPKSE_.kd
    .uniform_work_group_size: 1
    .uses_dynamic_stack: false
    .vgpr_count:     25
    .vgpr_spill_count: 0
    .wavefront_size: 32
    .workgroup_processor_mode: 1
  - .args:
      - .offset:         0
        .size:           4
        .value_kind:     by_value
      - .offset:         4
        .size:           4
        .value_kind:     by_value
      - .actual_access:  read_only
        .address_space:  global
        .offset:         8
        .size:           8
        .value_kind:     global_buffer
      - .actual_access:  read_only
        .address_space:  global
        .offset:         16
        .size:           8
        .value_kind:     global_buffer
      - .actual_access:  read_only
        .address_space:  global
        .offset:         24
        .size:           8
        .value_kind:     global_buffer
      - .actual_access:  read_only
        .address_space:  global
        .offset:         32
        .size:           8
        .value_kind:     global_buffer
      - .offset:         40
        .size:           4
        .value_kind:     by_value
      - .actual_access:  read_only
        .address_space:  global
        .offset:         48
        .size:           8
        .value_kind:     global_buffer
      - .actual_access:  read_only
        .address_space:  global
        .offset:         56
        .size:           8
        .value_kind:     global_buffer
      - .actual_access:  read_only
        .address_space:  global
        .offset:         64
        .size:           8
        .value_kind:     global_buffer
      - .actual_access:  read_only
        .address_space:  global
        .offset:         72
        .size:           8
        .value_kind:     global_buffer
      - .actual_access:  read_only
        .address_space:  global
        .offset:         80
        .size:           8
        .value_kind:     global_buffer
      - .actual_access:  read_only
        .address_space:  global
        .offset:         88
        .size:           8
        .value_kind:     global_buffer
      - .actual_access:  read_only
        .address_space:  global
        .offset:         96
        .size:           8
        .value_kind:     global_buffer
      - .address_space:  global
        .offset:         104
        .size:           8
        .value_kind:     global_buffer
      - .address_space:  global
        .offset:         112
        .size:           8
        .value_kind:     global_buffer
      - .address_space:  global
        .offset:         120
        .size:           8
        .value_kind:     global_buffer
    .group_segment_fixed_size: 0
    .kernarg_segment_align: 8
    .kernarg_segment_size: 128
    .language:       OpenCL C
    .language_version:
      - 2
      - 0
    .max_flat_workgroup_size: 1024
    .name:           _ZN9rocsparseL16kernel_calculateILi1024ELi64ELb0EfiiEEvT4_T3_PKS2_S4_PKS1_PKT2_21rocsparse_index_base_S4_S4_S6_S4_S4_S6_S4_PS7_PNS_15floating_traitsIS7_E6data_tEPKSE_
    .private_segment_fixed_size: 0
    .sgpr_count:     36
    .sgpr_spill_count: 0
    .symbol:         _ZN9rocsparseL16kernel_calculateILi1024ELi64ELb0EfiiEEvT4_T3_PKS2_S4_PKS1_PKT2_21rocsparse_index_base_S4_S4_S6_S4_S4_S6_S4_PS7_PNS_15floating_traitsIS7_E6data_tEPKSE_.kd
    .uniform_work_group_size: 1
    .uses_dynamic_stack: false
    .vgpr_count:     25
    .vgpr_spill_count: 0
    .wavefront_size: 32
    .workgroup_processor_mode: 1
  - .args:
      - .offset:         0
        .size:           4
        .value_kind:     by_value
      - .offset:         4
        .size:           4
        .value_kind:     by_value
      - .actual_access:  read_only
        .address_space:  global
        .offset:         8
        .size:           8
        .value_kind:     global_buffer
      - .actual_access:  read_only
        .address_space:  global
        .offset:         16
        .size:           8
        .value_kind:     global_buffer
      - .actual_access:  read_only
        .address_space:  global
        .offset:         24
        .size:           8
        .value_kind:     global_buffer
      - .offset:         32
        .size:           4
        .value_kind:     by_value
      - .actual_access:  read_only
        .address_space:  global
        .offset:         40
        .size:           8
        .value_kind:     global_buffer
      - .actual_access:  read_only
        .address_space:  global
        .offset:         48
        .size:           8
        .value_kind:     global_buffer
      - .actual_access:  read_only
        .address_space:  global
        .offset:         56
        .size:           8
        .value_kind:     global_buffer
      - .actual_access:  read_only
        .address_space:  global
        .offset:         64
        .size:           8
        .value_kind:     global_buffer
      - .actual_access:  read_only
        .address_space:  global
        .offset:         72
        .size:           8
        .value_kind:     global_buffer
      - .actual_access:  read_only
        .address_space:  global
        .offset:         80
        .size:           8
        .value_kind:     global_buffer
      - .actual_access:  read_only
        .address_space:  global
        .offset:         88
        .size:           8
        .value_kind:     global_buffer
      - .address_space:  global
        .offset:         96
        .size:           8
        .value_kind:     global_buffer
      - .address_space:  global
        .offset:         104
        .size:           8
        .value_kind:     global_buffer
      - .address_space:  global
        .offset:         112
        .size:           8
        .value_kind:     global_buffer
    .group_segment_fixed_size: 0
    .kernarg_segment_align: 8
    .kernarg_segment_size: 120
    .language:       OpenCL C
    .language_version:
      - 2
      - 0
    .max_flat_workgroup_size: 1024
    .name:           _ZN9rocsparseL20kernel_calculate_cooILi1024ELi32ELb0EfiiEEvT4_T3_PKS1_S4_PKT2_21rocsparse_index_base_PKS2_SA_S4_SA_SA_S4_SA_PS5_PNS_15floating_traitsIS5_E6data_tEPKSE_
    .private_segment_fixed_size: 0
    .sgpr_count:     31
    .sgpr_spill_count: 0
    .symbol:         _ZN9rocsparseL20kernel_calculate_cooILi1024ELi32ELb0EfiiEEvT4_T3_PKS1_S4_PKT2_21rocsparse_index_base_PKS2_SA_S4_SA_SA_S4_SA_PS5_PNS_15floating_traitsIS5_E6data_tEPKSE_.kd
    .uniform_work_group_size: 1
    .uses_dynamic_stack: false
    .vgpr_count:     21
    .vgpr_spill_count: 0
    .wavefront_size: 32
    .workgroup_processor_mode: 1
  - .args:
      - .offset:         0
        .size:           4
        .value_kind:     by_value
      - .offset:         4
        .size:           4
        .value_kind:     by_value
      - .actual_access:  read_only
        .address_space:  global
        .offset:         8
        .size:           8
        .value_kind:     global_buffer
      - .actual_access:  read_only
        .address_space:  global
        .offset:         16
        .size:           8
        .value_kind:     global_buffer
      - .actual_access:  read_only
        .address_space:  global
        .offset:         24
        .size:           8
        .value_kind:     global_buffer
      - .offset:         32
        .size:           4
        .value_kind:     by_value
      - .actual_access:  read_only
        .address_space:  global
        .offset:         40
        .size:           8
        .value_kind:     global_buffer
      - .actual_access:  read_only
        .address_space:  global
        .offset:         48
        .size:           8
        .value_kind:     global_buffer
      - .actual_access:  read_only
        .address_space:  global
        .offset:         56
        .size:           8
        .value_kind:     global_buffer
      - .actual_access:  read_only
        .address_space:  global
        .offset:         64
        .size:           8
        .value_kind:     global_buffer
      - .actual_access:  read_only
        .address_space:  global
        .offset:         72
        .size:           8
        .value_kind:     global_buffer
      - .actual_access:  read_only
        .address_space:  global
        .offset:         80
        .size:           8
        .value_kind:     global_buffer
      - .actual_access:  read_only
        .address_space:  global
        .offset:         88
        .size:           8
        .value_kind:     global_buffer
      - .address_space:  global
        .offset:         96
        .size:           8
        .value_kind:     global_buffer
      - .address_space:  global
        .offset:         104
        .size:           8
        .value_kind:     global_buffer
      - .address_space:  global
        .offset:         112
        .size:           8
        .value_kind:     global_buffer
    .group_segment_fixed_size: 0
    .kernarg_segment_align: 8
    .kernarg_segment_size: 120
    .language:       OpenCL C
    .language_version:
      - 2
      - 0
    .max_flat_workgroup_size: 1024
    .name:           _ZN9rocsparseL20kernel_calculate_cooILi1024ELi64ELb0EfiiEEvT4_T3_PKS1_S4_PKT2_21rocsparse_index_base_PKS2_SA_S4_SA_SA_S4_SA_PS5_PNS_15floating_traitsIS5_E6data_tEPKSE_
    .private_segment_fixed_size: 0
    .sgpr_count:     31
    .sgpr_spill_count: 0
    .symbol:         _ZN9rocsparseL20kernel_calculate_cooILi1024ELi64ELb0EfiiEEvT4_T3_PKS1_S4_PKT2_21rocsparse_index_base_PKS2_SA_S4_SA_SA_S4_SA_PS5_PNS_15floating_traitsIS5_E6data_tEPKSE_.kd
    .uniform_work_group_size: 1
    .uses_dynamic_stack: false
    .vgpr_count:     21
    .vgpr_spill_count: 0
    .wavefront_size: 32
    .workgroup_processor_mode: 1
  - .args:
      - .offset:         0
        .size:           4
        .value_kind:     by_value
      - .offset:         4
        .size:           4
        .value_kind:     by_value
      - .actual_access:  read_only
        .address_space:  global
        .offset:         8
        .size:           8
        .value_kind:     global_buffer
      - .actual_access:  read_only
        .address_space:  global
        .offset:         16
        .size:           8
        .value_kind:     global_buffer
      - .actual_access:  read_only
        .address_space:  global
        .offset:         24
        .size:           8
        .value_kind:     global_buffer
      - .offset:         32
        .size:           4
        .value_kind:     by_value
      - .actual_access:  read_only
        .address_space:  global
        .offset:         40
        .size:           8
        .value_kind:     global_buffer
      - .actual_access:  read_only
        .address_space:  global
        .offset:         48
        .size:           8
        .value_kind:     global_buffer
      - .actual_access:  read_only
        .address_space:  global
        .offset:         56
        .size:           8
        .value_kind:     global_buffer
      - .actual_access:  read_only
        .address_space:  global
        .offset:         64
        .size:           8
        .value_kind:     global_buffer
      - .actual_access:  read_only
        .address_space:  global
        .offset:         72
        .size:           8
        .value_kind:     global_buffer
      - .actual_access:  read_only
        .address_space:  global
        .offset:         80
        .size:           8
        .value_kind:     global_buffer
      - .actual_access:  read_only
        .address_space:  global
        .offset:         88
        .size:           8
        .value_kind:     global_buffer
      - .address_space:  global
        .offset:         96
        .size:           8
        .value_kind:     global_buffer
      - .address_space:  global
        .offset:         104
        .size:           8
        .value_kind:     global_buffer
      - .address_space:  global
        .offset:         112
        .size:           8
        .value_kind:     global_buffer
    .group_segment_fixed_size: 256
    .kernarg_segment_align: 8
    .kernarg_segment_size: 120
    .language:       OpenCL C
    .language_version:
      - 2
      - 0
    .max_flat_workgroup_size: 1024
    .name:           _ZN9rocsparseL20kernel_calculate_cooILi1024ELi32ELb1EdiiEEvT4_T3_PKS1_S4_PKT2_21rocsparse_index_base_PKS2_SA_S4_SA_SA_S4_SA_PS5_PNS_15floating_traitsIS5_E6data_tEPKSE_
    .private_segment_fixed_size: 0
    .sgpr_count:     39
    .sgpr_spill_count: 0
    .symbol:         _ZN9rocsparseL20kernel_calculate_cooILi1024ELi32ELb1EdiiEEvT4_T3_PKS1_S4_PKT2_21rocsparse_index_base_PKS2_SA_S4_SA_SA_S4_SA_PS5_PNS_15floating_traitsIS5_E6data_tEPKSE_.kd
    .uniform_work_group_size: 1
    .uses_dynamic_stack: false
    .vgpr_count:     26
    .vgpr_spill_count: 0
    .wavefront_size: 32
    .workgroup_processor_mode: 1
  - .args:
      - .offset:         0
        .size:           4
        .value_kind:     by_value
      - .offset:         4
        .size:           4
        .value_kind:     by_value
      - .actual_access:  read_only
        .address_space:  global
        .offset:         8
        .size:           8
        .value_kind:     global_buffer
      - .actual_access:  read_only
        .address_space:  global
        .offset:         16
        .size:           8
        .value_kind:     global_buffer
      - .actual_access:  read_only
        .address_space:  global
        .offset:         24
        .size:           8
        .value_kind:     global_buffer
      - .offset:         32
        .size:           4
        .value_kind:     by_value
      - .actual_access:  read_only
        .address_space:  global
        .offset:         40
        .size:           8
        .value_kind:     global_buffer
      - .actual_access:  read_only
        .address_space:  global
        .offset:         48
        .size:           8
        .value_kind:     global_buffer
      - .actual_access:  read_only
        .address_space:  global
        .offset:         56
        .size:           8
        .value_kind:     global_buffer
      - .actual_access:  read_only
        .address_space:  global
        .offset:         64
        .size:           8
        .value_kind:     global_buffer
      - .actual_access:  read_only
        .address_space:  global
        .offset:         72
        .size:           8
        .value_kind:     global_buffer
      - .actual_access:  read_only
        .address_space:  global
        .offset:         80
        .size:           8
        .value_kind:     global_buffer
      - .actual_access:  read_only
        .address_space:  global
        .offset:         88
        .size:           8
        .value_kind:     global_buffer
      - .address_space:  global
        .offset:         96
        .size:           8
        .value_kind:     global_buffer
      - .address_space:  global
        .offset:         104
        .size:           8
        .value_kind:     global_buffer
      - .address_space:  global
        .offset:         112
        .size:           8
        .value_kind:     global_buffer
    .group_segment_fixed_size: 128
    .kernarg_segment_align: 8
    .kernarg_segment_size: 120
    .language:       OpenCL C
    .language_version:
      - 2
      - 0
    .max_flat_workgroup_size: 1024
    .name:           _ZN9rocsparseL20kernel_calculate_cooILi1024ELi64ELb1EdiiEEvT4_T3_PKS1_S4_PKT2_21rocsparse_index_base_PKS2_SA_S4_SA_SA_S4_SA_PS5_PNS_15floating_traitsIS5_E6data_tEPKSE_
    .private_segment_fixed_size: 0
    .sgpr_count:     39
    .sgpr_spill_count: 0
    .symbol:         _ZN9rocsparseL20kernel_calculate_cooILi1024ELi64ELb1EdiiEEvT4_T3_PKS1_S4_PKT2_21rocsparse_index_base_PKS2_SA_S4_SA_SA_S4_SA_PS5_PNS_15floating_traitsIS5_E6data_tEPKSE_.kd
    .uniform_work_group_size: 1
    .uses_dynamic_stack: false
    .vgpr_count:     26
    .vgpr_spill_count: 0
    .wavefront_size: 32
    .workgroup_processor_mode: 1
  - .args:
      - .offset:         0
        .size:           4
        .value_kind:     by_value
      - .offset:         4
        .size:           4
        .value_kind:     by_value
      - .actual_access:  read_only
        .address_space:  global
        .offset:         8
        .size:           8
        .value_kind:     global_buffer
      - .actual_access:  read_only
        .address_space:  global
        .offset:         16
        .size:           8
        .value_kind:     global_buffer
      - .actual_access:  read_only
        .address_space:  global
        .offset:         24
        .size:           8
        .value_kind:     global_buffer
      - .actual_access:  read_only
        .address_space:  global
        .offset:         32
        .size:           8
        .value_kind:     global_buffer
      - .offset:         40
        .size:           4
        .value_kind:     by_value
      - .actual_access:  read_only
        .address_space:  global
        .offset:         48
        .size:           8
        .value_kind:     global_buffer
      - .actual_access:  read_only
        .address_space:  global
        .offset:         56
        .size:           8
        .value_kind:     global_buffer
      - .actual_access:  read_only
        .address_space:  global
        .offset:         64
        .size:           8
        .value_kind:     global_buffer
      - .actual_access:  read_only
        .address_space:  global
        .offset:         72
        .size:           8
        .value_kind:     global_buffer
      - .actual_access:  read_only
        .address_space:  global
        .offset:         80
        .size:           8
        .value_kind:     global_buffer
      - .actual_access:  read_only
        .address_space:  global
        .offset:         88
        .size:           8
        .value_kind:     global_buffer
      - .actual_access:  read_only
        .address_space:  global
        .offset:         96
        .size:           8
        .value_kind:     global_buffer
      - .address_space:  global
        .offset:         104
        .size:           8
        .value_kind:     global_buffer
      - .address_space:  global
        .offset:         112
        .size:           8
        .value_kind:     global_buffer
      - .address_space:  global
        .offset:         120
        .size:           8
        .value_kind:     global_buffer
    .group_segment_fixed_size: 8192
    .kernarg_segment_align: 8
    .kernarg_segment_size: 128
    .language:       OpenCL C
    .language_version:
      - 2
      - 0
    .max_flat_workgroup_size: 1024
    .name:           _ZN9rocsparseL16kernel_calculateILi1024ELi1ELb1EdiiEEvT4_T3_PKS2_S4_PKS1_PKT2_21rocsparse_index_base_S4_S4_S6_S4_S4_S6_S4_PS7_PNS_15floating_traitsIS7_E6data_tEPKSE_
    .private_segment_fixed_size: 0
    .sgpr_count:     34
    .sgpr_spill_count: 0
    .symbol:         _ZN9rocsparseL16kernel_calculateILi1024ELi1ELb1EdiiEEvT4_T3_PKS2_S4_PKS1_PKT2_21rocsparse_index_base_S4_S4_S6_S4_S4_S6_S4_PS7_PNS_15floating_traitsIS7_E6data_tEPKSE_.kd
    .uniform_work_group_size: 1
    .uses_dynamic_stack: false
    .vgpr_count:     31
    .vgpr_spill_count: 0
    .wavefront_size: 32
    .workgroup_processor_mode: 1
  - .args:
      - .offset:         0
        .size:           4
        .value_kind:     by_value
      - .offset:         4
        .size:           4
        .value_kind:     by_value
      - .actual_access:  read_only
        .address_space:  global
        .offset:         8
        .size:           8
        .value_kind:     global_buffer
      - .actual_access:  read_only
        .address_space:  global
        .offset:         16
        .size:           8
        .value_kind:     global_buffer
      - .actual_access:  read_only
        .address_space:  global
        .offset:         24
        .size:           8
        .value_kind:     global_buffer
      - .actual_access:  read_only
        .address_space:  global
        .offset:         32
        .size:           8
        .value_kind:     global_buffer
      - .offset:         40
        .size:           4
        .value_kind:     by_value
      - .actual_access:  read_only
        .address_space:  global
        .offset:         48
        .size:           8
        .value_kind:     global_buffer
      - .actual_access:  read_only
        .address_space:  global
        .offset:         56
        .size:           8
        .value_kind:     global_buffer
      - .actual_access:  read_only
        .address_space:  global
        .offset:         64
        .size:           8
        .value_kind:     global_buffer
      - .actual_access:  read_only
        .address_space:  global
        .offset:         72
        .size:           8
        .value_kind:     global_buffer
      - .actual_access:  read_only
        .address_space:  global
        .offset:         80
        .size:           8
        .value_kind:     global_buffer
      - .actual_access:  read_only
        .address_space:  global
        .offset:         88
        .size:           8
        .value_kind:     global_buffer
      - .actual_access:  read_only
        .address_space:  global
        .offset:         96
        .size:           8
        .value_kind:     global_buffer
      - .address_space:  global
        .offset:         104
        .size:           8
        .value_kind:     global_buffer
      - .address_space:  global
        .offset:         112
        .size:           8
        .value_kind:     global_buffer
      - .address_space:  global
        .offset:         120
        .size:           8
        .value_kind:     global_buffer
    .group_segment_fixed_size: 4096
    .kernarg_segment_align: 8
    .kernarg_segment_size: 128
    .language:       OpenCL C
    .language_version:
      - 2
      - 0
    .max_flat_workgroup_size: 1024
    .name:           _ZN9rocsparseL16kernel_calculateILi1024ELi2ELb1EdiiEEvT4_T3_PKS2_S4_PKS1_PKT2_21rocsparse_index_base_S4_S4_S6_S4_S4_S6_S4_PS7_PNS_15floating_traitsIS7_E6data_tEPKSE_
    .private_segment_fixed_size: 0
    .sgpr_count:     38
    .sgpr_spill_count: 0
    .symbol:         _ZN9rocsparseL16kernel_calculateILi1024ELi2ELb1EdiiEEvT4_T3_PKS2_S4_PKS1_PKT2_21rocsparse_index_base_S4_S4_S6_S4_S4_S6_S4_PS7_PNS_15floating_traitsIS7_E6data_tEPKSE_.kd
    .uniform_work_group_size: 1
    .uses_dynamic_stack: false
    .vgpr_count:     40
    .vgpr_spill_count: 0
    .wavefront_size: 32
    .workgroup_processor_mode: 1
  - .args:
      - .offset:         0
        .size:           4
        .value_kind:     by_value
      - .offset:         4
        .size:           4
        .value_kind:     by_value
      - .actual_access:  read_only
        .address_space:  global
        .offset:         8
        .size:           8
        .value_kind:     global_buffer
      - .actual_access:  read_only
        .address_space:  global
        .offset:         16
        .size:           8
        .value_kind:     global_buffer
      - .actual_access:  read_only
        .address_space:  global
        .offset:         24
        .size:           8
        .value_kind:     global_buffer
      - .actual_access:  read_only
        .address_space:  global
        .offset:         32
        .size:           8
        .value_kind:     global_buffer
      - .offset:         40
        .size:           4
        .value_kind:     by_value
      - .actual_access:  read_only
        .address_space:  global
        .offset:         48
        .size:           8
        .value_kind:     global_buffer
      - .actual_access:  read_only
        .address_space:  global
        .offset:         56
        .size:           8
        .value_kind:     global_buffer
      - .actual_access:  read_only
        .address_space:  global
        .offset:         64
        .size:           8
        .value_kind:     global_buffer
      - .actual_access:  read_only
        .address_space:  global
        .offset:         72
        .size:           8
        .value_kind:     global_buffer
      - .actual_access:  read_only
        .address_space:  global
        .offset:         80
        .size:           8
        .value_kind:     global_buffer
      - .actual_access:  read_only
        .address_space:  global
        .offset:         88
        .size:           8
        .value_kind:     global_buffer
      - .actual_access:  read_only
        .address_space:  global
        .offset:         96
        .size:           8
        .value_kind:     global_buffer
      - .address_space:  global
        .offset:         104
        .size:           8
        .value_kind:     global_buffer
      - .address_space:  global
        .offset:         112
        .size:           8
        .value_kind:     global_buffer
      - .address_space:  global
        .offset:         120
        .size:           8
        .value_kind:     global_buffer
    .group_segment_fixed_size: 2048
    .kernarg_segment_align: 8
    .kernarg_segment_size: 128
    .language:       OpenCL C
    .language_version:
      - 2
      - 0
    .max_flat_workgroup_size: 1024
    .name:           _ZN9rocsparseL16kernel_calculateILi1024ELi4ELb1EdiiEEvT4_T3_PKS2_S4_PKS1_PKT2_21rocsparse_index_base_S4_S4_S6_S4_S4_S6_S4_PS7_PNS_15floating_traitsIS7_E6data_tEPKSE_
    .private_segment_fixed_size: 0
    .sgpr_count:     44
    .sgpr_spill_count: 0
    .symbol:         _ZN9rocsparseL16kernel_calculateILi1024ELi4ELb1EdiiEEvT4_T3_PKS2_S4_PKS1_PKT2_21rocsparse_index_base_S4_S4_S6_S4_S4_S6_S4_PS7_PNS_15floating_traitsIS7_E6data_tEPKSE_.kd
    .uniform_work_group_size: 1
    .uses_dynamic_stack: false
    .vgpr_count:     33
    .vgpr_spill_count: 0
    .wavefront_size: 32
    .workgroup_processor_mode: 1
  - .args:
      - .offset:         0
        .size:           4
        .value_kind:     by_value
      - .offset:         4
        .size:           4
        .value_kind:     by_value
      - .actual_access:  read_only
        .address_space:  global
        .offset:         8
        .size:           8
        .value_kind:     global_buffer
      - .actual_access:  read_only
        .address_space:  global
        .offset:         16
        .size:           8
        .value_kind:     global_buffer
      - .actual_access:  read_only
        .address_space:  global
        .offset:         24
        .size:           8
        .value_kind:     global_buffer
      - .actual_access:  read_only
        .address_space:  global
        .offset:         32
        .size:           8
        .value_kind:     global_buffer
      - .offset:         40
        .size:           4
        .value_kind:     by_value
      - .actual_access:  read_only
        .address_space:  global
        .offset:         48
        .size:           8
        .value_kind:     global_buffer
      - .actual_access:  read_only
        .address_space:  global
        .offset:         56
        .size:           8
        .value_kind:     global_buffer
      - .actual_access:  read_only
        .address_space:  global
        .offset:         64
        .size:           8
        .value_kind:     global_buffer
      - .actual_access:  read_only
        .address_space:  global
        .offset:         72
        .size:           8
        .value_kind:     global_buffer
      - .actual_access:  read_only
        .address_space:  global
        .offset:         80
        .size:           8
        .value_kind:     global_buffer
      - .actual_access:  read_only
        .address_space:  global
        .offset:         88
        .size:           8
        .value_kind:     global_buffer
      - .actual_access:  read_only
        .address_space:  global
        .offset:         96
        .size:           8
        .value_kind:     global_buffer
      - .address_space:  global
        .offset:         104
        .size:           8
        .value_kind:     global_buffer
      - .address_space:  global
        .offset:         112
        .size:           8
        .value_kind:     global_buffer
      - .address_space:  global
        .offset:         120
        .size:           8
        .value_kind:     global_buffer
    .group_segment_fixed_size: 1024
    .kernarg_segment_align: 8
    .kernarg_segment_size: 128
    .language:       OpenCL C
    .language_version:
      - 2
      - 0
    .max_flat_workgroup_size: 1024
    .name:           _ZN9rocsparseL16kernel_calculateILi1024ELi8ELb1EdiiEEvT4_T3_PKS2_S4_PKS1_PKT2_21rocsparse_index_base_S4_S4_S6_S4_S4_S6_S4_PS7_PNS_15floating_traitsIS7_E6data_tEPKSE_
    .private_segment_fixed_size: 0
    .sgpr_count:     44
    .sgpr_spill_count: 0
    .symbol:         _ZN9rocsparseL16kernel_calculateILi1024ELi8ELb1EdiiEEvT4_T3_PKS2_S4_PKS1_PKT2_21rocsparse_index_base_S4_S4_S6_S4_S4_S6_S4_PS7_PNS_15floating_traitsIS7_E6data_tEPKSE_.kd
    .uniform_work_group_size: 1
    .uses_dynamic_stack: false
    .vgpr_count:     33
    .vgpr_spill_count: 0
    .wavefront_size: 32
    .workgroup_processor_mode: 1
  - .args:
      - .offset:         0
        .size:           4
        .value_kind:     by_value
      - .offset:         4
        .size:           4
        .value_kind:     by_value
      - .actual_access:  read_only
        .address_space:  global
        .offset:         8
        .size:           8
        .value_kind:     global_buffer
      - .actual_access:  read_only
        .address_space:  global
        .offset:         16
        .size:           8
        .value_kind:     global_buffer
      - .actual_access:  read_only
        .address_space:  global
        .offset:         24
        .size:           8
        .value_kind:     global_buffer
      - .actual_access:  read_only
        .address_space:  global
        .offset:         32
        .size:           8
        .value_kind:     global_buffer
      - .offset:         40
        .size:           4
        .value_kind:     by_value
      - .actual_access:  read_only
        .address_space:  global
        .offset:         48
        .size:           8
        .value_kind:     global_buffer
      - .actual_access:  read_only
        .address_space:  global
        .offset:         56
        .size:           8
        .value_kind:     global_buffer
      - .actual_access:  read_only
        .address_space:  global
        .offset:         64
        .size:           8
        .value_kind:     global_buffer
      - .actual_access:  read_only
        .address_space:  global
        .offset:         72
        .size:           8
        .value_kind:     global_buffer
      - .actual_access:  read_only
        .address_space:  global
        .offset:         80
        .size:           8
        .value_kind:     global_buffer
      - .actual_access:  read_only
        .address_space:  global
        .offset:         88
        .size:           8
        .value_kind:     global_buffer
      - .actual_access:  read_only
        .address_space:  global
        .offset:         96
        .size:           8
        .value_kind:     global_buffer
      - .address_space:  global
        .offset:         104
        .size:           8
        .value_kind:     global_buffer
      - .address_space:  global
        .offset:         112
        .size:           8
        .value_kind:     global_buffer
      - .address_space:  global
        .offset:         120
        .size:           8
        .value_kind:     global_buffer
    .group_segment_fixed_size: 512
    .kernarg_segment_align: 8
    .kernarg_segment_size: 128
    .language:       OpenCL C
    .language_version:
      - 2
      - 0
    .max_flat_workgroup_size: 1024
    .name:           _ZN9rocsparseL16kernel_calculateILi1024ELi16ELb1EdiiEEvT4_T3_PKS2_S4_PKS1_PKT2_21rocsparse_index_base_S4_S4_S6_S4_S4_S6_S4_PS7_PNS_15floating_traitsIS7_E6data_tEPKSE_
    .private_segment_fixed_size: 0
    .sgpr_count:     44
    .sgpr_spill_count: 0
    .symbol:         _ZN9rocsparseL16kernel_calculateILi1024ELi16ELb1EdiiEEvT4_T3_PKS2_S4_PKS1_PKT2_21rocsparse_index_base_S4_S4_S6_S4_S4_S6_S4_PS7_PNS_15floating_traitsIS7_E6data_tEPKSE_.kd
    .uniform_work_group_size: 1
    .uses_dynamic_stack: false
    .vgpr_count:     33
    .vgpr_spill_count: 0
    .wavefront_size: 32
    .workgroup_processor_mode: 1
  - .args:
      - .offset:         0
        .size:           4
        .value_kind:     by_value
      - .offset:         4
        .size:           4
        .value_kind:     by_value
      - .actual_access:  read_only
        .address_space:  global
        .offset:         8
        .size:           8
        .value_kind:     global_buffer
      - .actual_access:  read_only
        .address_space:  global
        .offset:         16
        .size:           8
        .value_kind:     global_buffer
      - .actual_access:  read_only
        .address_space:  global
        .offset:         24
        .size:           8
        .value_kind:     global_buffer
      - .actual_access:  read_only
        .address_space:  global
        .offset:         32
        .size:           8
        .value_kind:     global_buffer
      - .offset:         40
        .size:           4
        .value_kind:     by_value
      - .actual_access:  read_only
        .address_space:  global
        .offset:         48
        .size:           8
        .value_kind:     global_buffer
      - .actual_access:  read_only
        .address_space:  global
        .offset:         56
        .size:           8
        .value_kind:     global_buffer
      - .actual_access:  read_only
        .address_space:  global
        .offset:         64
        .size:           8
        .value_kind:     global_buffer
      - .actual_access:  read_only
        .address_space:  global
        .offset:         72
        .size:           8
        .value_kind:     global_buffer
      - .actual_access:  read_only
        .address_space:  global
        .offset:         80
        .size:           8
        .value_kind:     global_buffer
      - .actual_access:  read_only
        .address_space:  global
        .offset:         88
        .size:           8
        .value_kind:     global_buffer
      - .actual_access:  read_only
        .address_space:  global
        .offset:         96
        .size:           8
        .value_kind:     global_buffer
      - .address_space:  global
        .offset:         104
        .size:           8
        .value_kind:     global_buffer
      - .address_space:  global
        .offset:         112
        .size:           8
        .value_kind:     global_buffer
      - .address_space:  global
        .offset:         120
        .size:           8
        .value_kind:     global_buffer
    .group_segment_fixed_size: 256
    .kernarg_segment_align: 8
    .kernarg_segment_size: 128
    .language:       OpenCL C
    .language_version:
      - 2
      - 0
    .max_flat_workgroup_size: 1024
    .name:           _ZN9rocsparseL16kernel_calculateILi1024ELi32ELb1EdiiEEvT4_T3_PKS2_S4_PKS1_PKT2_21rocsparse_index_base_S4_S4_S6_S4_S4_S6_S4_PS7_PNS_15floating_traitsIS7_E6data_tEPKSE_
    .private_segment_fixed_size: 0
    .sgpr_count:     44
    .sgpr_spill_count: 0
    .symbol:         _ZN9rocsparseL16kernel_calculateILi1024ELi32ELb1EdiiEEvT4_T3_PKS2_S4_PKS1_PKT2_21rocsparse_index_base_S4_S4_S6_S4_S4_S6_S4_PS7_PNS_15floating_traitsIS7_E6data_tEPKSE_.kd
    .uniform_work_group_size: 1
    .uses_dynamic_stack: false
    .vgpr_count:     33
    .vgpr_spill_count: 0
    .wavefront_size: 32
    .workgroup_processor_mode: 1
  - .args:
      - .offset:         0
        .size:           4
        .value_kind:     by_value
      - .offset:         4
        .size:           4
        .value_kind:     by_value
      - .actual_access:  read_only
        .address_space:  global
        .offset:         8
        .size:           8
        .value_kind:     global_buffer
      - .actual_access:  read_only
        .address_space:  global
        .offset:         16
        .size:           8
        .value_kind:     global_buffer
      - .actual_access:  read_only
        .address_space:  global
        .offset:         24
        .size:           8
        .value_kind:     global_buffer
      - .actual_access:  read_only
        .address_space:  global
        .offset:         32
        .size:           8
        .value_kind:     global_buffer
      - .offset:         40
        .size:           4
        .value_kind:     by_value
      - .actual_access:  read_only
        .address_space:  global
        .offset:         48
        .size:           8
        .value_kind:     global_buffer
      - .actual_access:  read_only
        .address_space:  global
        .offset:         56
        .size:           8
        .value_kind:     global_buffer
      - .actual_access:  read_only
        .address_space:  global
        .offset:         64
        .size:           8
        .value_kind:     global_buffer
      - .actual_access:  read_only
        .address_space:  global
        .offset:         72
        .size:           8
        .value_kind:     global_buffer
      - .actual_access:  read_only
        .address_space:  global
        .offset:         80
        .size:           8
        .value_kind:     global_buffer
      - .actual_access:  read_only
        .address_space:  global
        .offset:         88
        .size:           8
        .value_kind:     global_buffer
      - .actual_access:  read_only
        .address_space:  global
        .offset:         96
        .size:           8
        .value_kind:     global_buffer
      - .address_space:  global
        .offset:         104
        .size:           8
        .value_kind:     global_buffer
      - .address_space:  global
        .offset:         112
        .size:           8
        .value_kind:     global_buffer
      - .address_space:  global
        .offset:         120
        .size:           8
        .value_kind:     global_buffer
    .group_segment_fixed_size: 128
    .kernarg_segment_align: 8
    .kernarg_segment_size: 128
    .language:       OpenCL C
    .language_version:
      - 2
      - 0
    .max_flat_workgroup_size: 1024
    .name:           _ZN9rocsparseL16kernel_calculateILi1024ELi64ELb1EdiiEEvT4_T3_PKS2_S4_PKS1_PKT2_21rocsparse_index_base_S4_S4_S6_S4_S4_S6_S4_PS7_PNS_15floating_traitsIS7_E6data_tEPKSE_
    .private_segment_fixed_size: 0
    .sgpr_count:     44
    .sgpr_spill_count: 0
    .symbol:         _ZN9rocsparseL16kernel_calculateILi1024ELi64ELb1EdiiEEvT4_T3_PKS2_S4_PKS1_PKT2_21rocsparse_index_base_S4_S4_S6_S4_S4_S6_S4_PS7_PNS_15floating_traitsIS7_E6data_tEPKSE_.kd
    .uniform_work_group_size: 1
    .uses_dynamic_stack: false
    .vgpr_count:     33
    .vgpr_spill_count: 0
    .wavefront_size: 32
    .workgroup_processor_mode: 1
  - .args:
      - .offset:         0
        .size:           4
        .value_kind:     by_value
      - .offset:         4
        .size:           4
        .value_kind:     by_value
      - .actual_access:  read_only
        .address_space:  global
        .offset:         8
        .size:           8
        .value_kind:     global_buffer
      - .actual_access:  read_only
        .address_space:  global
        .offset:         16
        .size:           8
        .value_kind:     global_buffer
      - .actual_access:  read_only
        .address_space:  global
        .offset:         24
        .size:           8
        .value_kind:     global_buffer
      - .actual_access:  read_only
        .address_space:  global
        .offset:         32
        .size:           8
        .value_kind:     global_buffer
      - .offset:         40
        .size:           4
        .value_kind:     by_value
      - .actual_access:  read_only
        .address_space:  global
        .offset:         48
        .size:           8
        .value_kind:     global_buffer
      - .actual_access:  read_only
        .address_space:  global
        .offset:         56
        .size:           8
        .value_kind:     global_buffer
      - .actual_access:  read_only
        .address_space:  global
        .offset:         64
        .size:           8
        .value_kind:     global_buffer
      - .actual_access:  read_only
        .address_space:  global
        .offset:         72
        .size:           8
        .value_kind:     global_buffer
      - .actual_access:  read_only
        .address_space:  global
        .offset:         80
        .size:           8
        .value_kind:     global_buffer
      - .actual_access:  read_only
        .address_space:  global
        .offset:         88
        .size:           8
        .value_kind:     global_buffer
      - .actual_access:  read_only
        .address_space:  global
        .offset:         96
        .size:           8
        .value_kind:     global_buffer
      - .address_space:  global
        .offset:         104
        .size:           8
        .value_kind:     global_buffer
      - .address_space:  global
        .offset:         112
        .size:           8
        .value_kind:     global_buffer
      - .address_space:  global
        .offset:         120
        .size:           8
        .value_kind:     global_buffer
    .group_segment_fixed_size: 0
    .kernarg_segment_align: 8
    .kernarg_segment_size: 128
    .language:       OpenCL C
    .language_version:
      - 2
      - 0
    .max_flat_workgroup_size: 1024
    .name:           _ZN9rocsparseL16kernel_calculateILi1024ELi1ELb0EdiiEEvT4_T3_PKS2_S4_PKS1_PKT2_21rocsparse_index_base_S4_S4_S6_S4_S4_S6_S4_PS7_PNS_15floating_traitsIS7_E6data_tEPKSE_
    .private_segment_fixed_size: 0
    .sgpr_count:     26
    .sgpr_spill_count: 0
    .symbol:         _ZN9rocsparseL16kernel_calculateILi1024ELi1ELb0EdiiEEvT4_T3_PKS2_S4_PKS1_PKT2_21rocsparse_index_base_S4_S4_S6_S4_S4_S6_S4_PS7_PNS_15floating_traitsIS7_E6data_tEPKSE_.kd
    .uniform_work_group_size: 1
    .uses_dynamic_stack: false
    .vgpr_count:     25
    .vgpr_spill_count: 0
    .wavefront_size: 32
    .workgroup_processor_mode: 1
  - .args:
      - .offset:         0
        .size:           4
        .value_kind:     by_value
      - .offset:         4
        .size:           4
        .value_kind:     by_value
      - .actual_access:  read_only
        .address_space:  global
        .offset:         8
        .size:           8
        .value_kind:     global_buffer
      - .actual_access:  read_only
        .address_space:  global
        .offset:         16
        .size:           8
        .value_kind:     global_buffer
      - .actual_access:  read_only
        .address_space:  global
        .offset:         24
        .size:           8
        .value_kind:     global_buffer
      - .actual_access:  read_only
        .address_space:  global
        .offset:         32
        .size:           8
        .value_kind:     global_buffer
      - .offset:         40
        .size:           4
        .value_kind:     by_value
      - .actual_access:  read_only
        .address_space:  global
        .offset:         48
        .size:           8
        .value_kind:     global_buffer
      - .actual_access:  read_only
        .address_space:  global
        .offset:         56
        .size:           8
        .value_kind:     global_buffer
      - .actual_access:  read_only
        .address_space:  global
        .offset:         64
        .size:           8
        .value_kind:     global_buffer
      - .actual_access:  read_only
        .address_space:  global
        .offset:         72
        .size:           8
        .value_kind:     global_buffer
      - .actual_access:  read_only
        .address_space:  global
        .offset:         80
        .size:           8
        .value_kind:     global_buffer
      - .actual_access:  read_only
        .address_space:  global
        .offset:         88
        .size:           8
        .value_kind:     global_buffer
      - .actual_access:  read_only
        .address_space:  global
        .offset:         96
        .size:           8
        .value_kind:     global_buffer
      - .address_space:  global
        .offset:         104
        .size:           8
        .value_kind:     global_buffer
      - .address_space:  global
        .offset:         112
        .size:           8
        .value_kind:     global_buffer
      - .address_space:  global
        .offset:         120
        .size:           8
        .value_kind:     global_buffer
    .group_segment_fixed_size: 0
    .kernarg_segment_align: 8
    .kernarg_segment_size: 128
    .language:       OpenCL C
    .language_version:
      - 2
      - 0
    .max_flat_workgroup_size: 1024
    .name:           _ZN9rocsparseL16kernel_calculateILi1024ELi2ELb0EdiiEEvT4_T3_PKS2_S4_PKS1_PKT2_21rocsparse_index_base_S4_S4_S6_S4_S4_S6_S4_PS7_PNS_15floating_traitsIS7_E6data_tEPKSE_
    .private_segment_fixed_size: 0
    .sgpr_count:     30
    .sgpr_spill_count: 0
    .symbol:         _ZN9rocsparseL16kernel_calculateILi1024ELi2ELb0EdiiEEvT4_T3_PKS2_S4_PKS1_PKT2_21rocsparse_index_base_S4_S4_S6_S4_S4_S6_S4_PS7_PNS_15floating_traitsIS7_E6data_tEPKSE_.kd
    .uniform_work_group_size: 1
    .uses_dynamic_stack: false
    .vgpr_count:     32
    .vgpr_spill_count: 0
    .wavefront_size: 32
    .workgroup_processor_mode: 1
  - .args:
      - .offset:         0
        .size:           4
        .value_kind:     by_value
      - .offset:         4
        .size:           4
        .value_kind:     by_value
      - .actual_access:  read_only
        .address_space:  global
        .offset:         8
        .size:           8
        .value_kind:     global_buffer
      - .actual_access:  read_only
        .address_space:  global
        .offset:         16
        .size:           8
        .value_kind:     global_buffer
      - .actual_access:  read_only
        .address_space:  global
        .offset:         24
        .size:           8
        .value_kind:     global_buffer
      - .actual_access:  read_only
        .address_space:  global
        .offset:         32
        .size:           8
        .value_kind:     global_buffer
      - .offset:         40
        .size:           4
        .value_kind:     by_value
      - .actual_access:  read_only
        .address_space:  global
        .offset:         48
        .size:           8
        .value_kind:     global_buffer
      - .actual_access:  read_only
        .address_space:  global
        .offset:         56
        .size:           8
        .value_kind:     global_buffer
      - .actual_access:  read_only
        .address_space:  global
        .offset:         64
        .size:           8
        .value_kind:     global_buffer
      - .actual_access:  read_only
        .address_space:  global
        .offset:         72
        .size:           8
        .value_kind:     global_buffer
      - .actual_access:  read_only
        .address_space:  global
        .offset:         80
        .size:           8
        .value_kind:     global_buffer
      - .actual_access:  read_only
        .address_space:  global
        .offset:         88
        .size:           8
        .value_kind:     global_buffer
      - .actual_access:  read_only
        .address_space:  global
        .offset:         96
        .size:           8
        .value_kind:     global_buffer
      - .address_space:  global
        .offset:         104
        .size:           8
        .value_kind:     global_buffer
      - .address_space:  global
        .offset:         112
        .size:           8
        .value_kind:     global_buffer
      - .address_space:  global
        .offset:         120
        .size:           8
        .value_kind:     global_buffer
    .group_segment_fixed_size: 0
    .kernarg_segment_align: 8
    .kernarg_segment_size: 128
    .language:       OpenCL C
    .language_version:
      - 2
      - 0
    .max_flat_workgroup_size: 1024
    .name:           _ZN9rocsparseL16kernel_calculateILi1024ELi4ELb0EdiiEEvT4_T3_PKS2_S4_PKS1_PKT2_21rocsparse_index_base_S4_S4_S6_S4_S4_S6_S4_PS7_PNS_15floating_traitsIS7_E6data_tEPKSE_
    .private_segment_fixed_size: 0
    .sgpr_count:     36
    .sgpr_spill_count: 0
    .symbol:         _ZN9rocsparseL16kernel_calculateILi1024ELi4ELb0EdiiEEvT4_T3_PKS2_S4_PKS1_PKT2_21rocsparse_index_base_S4_S4_S6_S4_S4_S6_S4_PS7_PNS_15floating_traitsIS7_E6data_tEPKSE_.kd
    .uniform_work_group_size: 1
    .uses_dynamic_stack: false
    .vgpr_count:     27
    .vgpr_spill_count: 0
    .wavefront_size: 32
    .workgroup_processor_mode: 1
  - .args:
      - .offset:         0
        .size:           4
        .value_kind:     by_value
      - .offset:         4
        .size:           4
        .value_kind:     by_value
      - .actual_access:  read_only
        .address_space:  global
        .offset:         8
        .size:           8
        .value_kind:     global_buffer
      - .actual_access:  read_only
        .address_space:  global
        .offset:         16
        .size:           8
        .value_kind:     global_buffer
      - .actual_access:  read_only
        .address_space:  global
        .offset:         24
        .size:           8
        .value_kind:     global_buffer
      - .actual_access:  read_only
        .address_space:  global
        .offset:         32
        .size:           8
        .value_kind:     global_buffer
      - .offset:         40
        .size:           4
        .value_kind:     by_value
      - .actual_access:  read_only
        .address_space:  global
        .offset:         48
        .size:           8
        .value_kind:     global_buffer
      - .actual_access:  read_only
        .address_space:  global
        .offset:         56
        .size:           8
        .value_kind:     global_buffer
      - .actual_access:  read_only
        .address_space:  global
        .offset:         64
        .size:           8
        .value_kind:     global_buffer
      - .actual_access:  read_only
        .address_space:  global
        .offset:         72
        .size:           8
        .value_kind:     global_buffer
      - .actual_access:  read_only
        .address_space:  global
        .offset:         80
        .size:           8
        .value_kind:     global_buffer
      - .actual_access:  read_only
        .address_space:  global
        .offset:         88
        .size:           8
        .value_kind:     global_buffer
      - .actual_access:  read_only
        .address_space:  global
        .offset:         96
        .size:           8
        .value_kind:     global_buffer
      - .address_space:  global
        .offset:         104
        .size:           8
        .value_kind:     global_buffer
      - .address_space:  global
        .offset:         112
        .size:           8
        .value_kind:     global_buffer
      - .address_space:  global
        .offset:         120
        .size:           8
        .value_kind:     global_buffer
    .group_segment_fixed_size: 0
    .kernarg_segment_align: 8
    .kernarg_segment_size: 128
    .language:       OpenCL C
    .language_version:
      - 2
      - 0
    .max_flat_workgroup_size: 1024
    .name:           _ZN9rocsparseL16kernel_calculateILi1024ELi8ELb0EdiiEEvT4_T3_PKS2_S4_PKS1_PKT2_21rocsparse_index_base_S4_S4_S6_S4_S4_S6_S4_PS7_PNS_15floating_traitsIS7_E6data_tEPKSE_
    .private_segment_fixed_size: 0
    .sgpr_count:     36
    .sgpr_spill_count: 0
    .symbol:         _ZN9rocsparseL16kernel_calculateILi1024ELi8ELb0EdiiEEvT4_T3_PKS2_S4_PKS1_PKT2_21rocsparse_index_base_S4_S4_S6_S4_S4_S6_S4_PS7_PNS_15floating_traitsIS7_E6data_tEPKSE_.kd
    .uniform_work_group_size: 1
    .uses_dynamic_stack: false
    .vgpr_count:     27
    .vgpr_spill_count: 0
    .wavefront_size: 32
    .workgroup_processor_mode: 1
  - .args:
      - .offset:         0
        .size:           4
        .value_kind:     by_value
      - .offset:         4
        .size:           4
        .value_kind:     by_value
      - .actual_access:  read_only
        .address_space:  global
        .offset:         8
        .size:           8
        .value_kind:     global_buffer
      - .actual_access:  read_only
        .address_space:  global
        .offset:         16
        .size:           8
        .value_kind:     global_buffer
      - .actual_access:  read_only
        .address_space:  global
        .offset:         24
        .size:           8
        .value_kind:     global_buffer
      - .actual_access:  read_only
        .address_space:  global
        .offset:         32
        .size:           8
        .value_kind:     global_buffer
      - .offset:         40
        .size:           4
        .value_kind:     by_value
      - .actual_access:  read_only
        .address_space:  global
        .offset:         48
        .size:           8
        .value_kind:     global_buffer
      - .actual_access:  read_only
        .address_space:  global
        .offset:         56
        .size:           8
        .value_kind:     global_buffer
      - .actual_access:  read_only
        .address_space:  global
        .offset:         64
        .size:           8
        .value_kind:     global_buffer
      - .actual_access:  read_only
        .address_space:  global
        .offset:         72
        .size:           8
        .value_kind:     global_buffer
      - .actual_access:  read_only
        .address_space:  global
        .offset:         80
        .size:           8
        .value_kind:     global_buffer
      - .actual_access:  read_only
        .address_space:  global
        .offset:         88
        .size:           8
        .value_kind:     global_buffer
      - .actual_access:  read_only
        .address_space:  global
        .offset:         96
        .size:           8
        .value_kind:     global_buffer
      - .address_space:  global
        .offset:         104
        .size:           8
        .value_kind:     global_buffer
      - .address_space:  global
        .offset:         112
        .size:           8
        .value_kind:     global_buffer
      - .address_space:  global
        .offset:         120
        .size:           8
        .value_kind:     global_buffer
    .group_segment_fixed_size: 0
    .kernarg_segment_align: 8
    .kernarg_segment_size: 128
    .language:       OpenCL C
    .language_version:
      - 2
      - 0
    .max_flat_workgroup_size: 1024
    .name:           _ZN9rocsparseL16kernel_calculateILi1024ELi16ELb0EdiiEEvT4_T3_PKS2_S4_PKS1_PKT2_21rocsparse_index_base_S4_S4_S6_S4_S4_S6_S4_PS7_PNS_15floating_traitsIS7_E6data_tEPKSE_
    .private_segment_fixed_size: 0
    .sgpr_count:     36
    .sgpr_spill_count: 0
    .symbol:         _ZN9rocsparseL16kernel_calculateILi1024ELi16ELb0EdiiEEvT4_T3_PKS2_S4_PKS1_PKT2_21rocsparse_index_base_S4_S4_S6_S4_S4_S6_S4_PS7_PNS_15floating_traitsIS7_E6data_tEPKSE_.kd
    .uniform_work_group_size: 1
    .uses_dynamic_stack: false
    .vgpr_count:     27
    .vgpr_spill_count: 0
    .wavefront_size: 32
    .workgroup_processor_mode: 1
  - .args:
      - .offset:         0
        .size:           4
        .value_kind:     by_value
      - .offset:         4
        .size:           4
        .value_kind:     by_value
      - .actual_access:  read_only
        .address_space:  global
        .offset:         8
        .size:           8
        .value_kind:     global_buffer
      - .actual_access:  read_only
        .address_space:  global
        .offset:         16
        .size:           8
        .value_kind:     global_buffer
      - .actual_access:  read_only
        .address_space:  global
        .offset:         24
        .size:           8
        .value_kind:     global_buffer
      - .actual_access:  read_only
        .address_space:  global
        .offset:         32
        .size:           8
        .value_kind:     global_buffer
      - .offset:         40
        .size:           4
        .value_kind:     by_value
      - .actual_access:  read_only
        .address_space:  global
        .offset:         48
        .size:           8
        .value_kind:     global_buffer
      - .actual_access:  read_only
        .address_space:  global
        .offset:         56
        .size:           8
        .value_kind:     global_buffer
      - .actual_access:  read_only
        .address_space:  global
        .offset:         64
        .size:           8
        .value_kind:     global_buffer
      - .actual_access:  read_only
        .address_space:  global
        .offset:         72
        .size:           8
        .value_kind:     global_buffer
      - .actual_access:  read_only
        .address_space:  global
        .offset:         80
        .size:           8
        .value_kind:     global_buffer
      - .actual_access:  read_only
        .address_space:  global
        .offset:         88
        .size:           8
        .value_kind:     global_buffer
      - .actual_access:  read_only
        .address_space:  global
        .offset:         96
        .size:           8
        .value_kind:     global_buffer
      - .address_space:  global
        .offset:         104
        .size:           8
        .value_kind:     global_buffer
      - .address_space:  global
        .offset:         112
        .size:           8
        .value_kind:     global_buffer
      - .address_space:  global
        .offset:         120
        .size:           8
        .value_kind:     global_buffer
    .group_segment_fixed_size: 0
    .kernarg_segment_align: 8
    .kernarg_segment_size: 128
    .language:       OpenCL C
    .language_version:
      - 2
      - 0
    .max_flat_workgroup_size: 1024
    .name:           _ZN9rocsparseL16kernel_calculateILi1024ELi32ELb0EdiiEEvT4_T3_PKS2_S4_PKS1_PKT2_21rocsparse_index_base_S4_S4_S6_S4_S4_S6_S4_PS7_PNS_15floating_traitsIS7_E6data_tEPKSE_
    .private_segment_fixed_size: 0
    .sgpr_count:     36
    .sgpr_spill_count: 0
    .symbol:         _ZN9rocsparseL16kernel_calculateILi1024ELi32ELb0EdiiEEvT4_T3_PKS2_S4_PKS1_PKT2_21rocsparse_index_base_S4_S4_S6_S4_S4_S6_S4_PS7_PNS_15floating_traitsIS7_E6data_tEPKSE_.kd
    .uniform_work_group_size: 1
    .uses_dynamic_stack: false
    .vgpr_count:     27
    .vgpr_spill_count: 0
    .wavefront_size: 32
    .workgroup_processor_mode: 1
  - .args:
      - .offset:         0
        .size:           4
        .value_kind:     by_value
      - .offset:         4
        .size:           4
        .value_kind:     by_value
      - .actual_access:  read_only
        .address_space:  global
        .offset:         8
        .size:           8
        .value_kind:     global_buffer
      - .actual_access:  read_only
        .address_space:  global
        .offset:         16
        .size:           8
        .value_kind:     global_buffer
      - .actual_access:  read_only
        .address_space:  global
        .offset:         24
        .size:           8
        .value_kind:     global_buffer
      - .actual_access:  read_only
        .address_space:  global
        .offset:         32
        .size:           8
        .value_kind:     global_buffer
      - .offset:         40
        .size:           4
        .value_kind:     by_value
      - .actual_access:  read_only
        .address_space:  global
        .offset:         48
        .size:           8
        .value_kind:     global_buffer
      - .actual_access:  read_only
        .address_space:  global
        .offset:         56
        .size:           8
        .value_kind:     global_buffer
      - .actual_access:  read_only
        .address_space:  global
        .offset:         64
        .size:           8
        .value_kind:     global_buffer
      - .actual_access:  read_only
        .address_space:  global
        .offset:         72
        .size:           8
        .value_kind:     global_buffer
      - .actual_access:  read_only
        .address_space:  global
        .offset:         80
        .size:           8
        .value_kind:     global_buffer
      - .actual_access:  read_only
        .address_space:  global
        .offset:         88
        .size:           8
        .value_kind:     global_buffer
      - .actual_access:  read_only
        .address_space:  global
        .offset:         96
        .size:           8
        .value_kind:     global_buffer
      - .address_space:  global
        .offset:         104
        .size:           8
        .value_kind:     global_buffer
      - .address_space:  global
        .offset:         112
        .size:           8
        .value_kind:     global_buffer
      - .address_space:  global
        .offset:         120
        .size:           8
        .value_kind:     global_buffer
    .group_segment_fixed_size: 0
    .kernarg_segment_align: 8
    .kernarg_segment_size: 128
    .language:       OpenCL C
    .language_version:
      - 2
      - 0
    .max_flat_workgroup_size: 1024
    .name:           _ZN9rocsparseL16kernel_calculateILi1024ELi64ELb0EdiiEEvT4_T3_PKS2_S4_PKS1_PKT2_21rocsparse_index_base_S4_S4_S6_S4_S4_S6_S4_PS7_PNS_15floating_traitsIS7_E6data_tEPKSE_
    .private_segment_fixed_size: 0
    .sgpr_count:     36
    .sgpr_spill_count: 0
    .symbol:         _ZN9rocsparseL16kernel_calculateILi1024ELi64ELb0EdiiEEvT4_T3_PKS2_S4_PKS1_PKT2_21rocsparse_index_base_S4_S4_S6_S4_S4_S6_S4_PS7_PNS_15floating_traitsIS7_E6data_tEPKSE_.kd
    .uniform_work_group_size: 1
    .uses_dynamic_stack: false
    .vgpr_count:     27
    .vgpr_spill_count: 0
    .wavefront_size: 32
    .workgroup_processor_mode: 1
  - .args:
      - .offset:         0
        .size:           4
        .value_kind:     by_value
      - .offset:         4
        .size:           4
        .value_kind:     by_value
      - .actual_access:  read_only
        .address_space:  global
        .offset:         8
        .size:           8
        .value_kind:     global_buffer
      - .actual_access:  read_only
        .address_space:  global
        .offset:         16
        .size:           8
        .value_kind:     global_buffer
      - .actual_access:  read_only
        .address_space:  global
        .offset:         24
        .size:           8
        .value_kind:     global_buffer
      - .offset:         32
        .size:           4
        .value_kind:     by_value
      - .actual_access:  read_only
        .address_space:  global
        .offset:         40
        .size:           8
        .value_kind:     global_buffer
      - .actual_access:  read_only
        .address_space:  global
        .offset:         48
        .size:           8
        .value_kind:     global_buffer
      - .actual_access:  read_only
        .address_space:  global
        .offset:         56
        .size:           8
        .value_kind:     global_buffer
      - .actual_access:  read_only
        .address_space:  global
        .offset:         64
        .size:           8
        .value_kind:     global_buffer
      - .actual_access:  read_only
        .address_space:  global
        .offset:         72
        .size:           8
        .value_kind:     global_buffer
      - .actual_access:  read_only
        .address_space:  global
        .offset:         80
        .size:           8
        .value_kind:     global_buffer
      - .actual_access:  read_only
        .address_space:  global
        .offset:         88
        .size:           8
        .value_kind:     global_buffer
      - .address_space:  global
        .offset:         96
        .size:           8
        .value_kind:     global_buffer
      - .address_space:  global
        .offset:         104
        .size:           8
        .value_kind:     global_buffer
      - .address_space:  global
        .offset:         112
        .size:           8
        .value_kind:     global_buffer
    .group_segment_fixed_size: 0
    .kernarg_segment_align: 8
    .kernarg_segment_size: 120
    .language:       OpenCL C
    .language_version:
      - 2
      - 0
    .max_flat_workgroup_size: 1024
    .name:           _ZN9rocsparseL20kernel_calculate_cooILi1024ELi32ELb0EdiiEEvT4_T3_PKS1_S4_PKT2_21rocsparse_index_base_PKS2_SA_S4_SA_SA_S4_SA_PS5_PNS_15floating_traitsIS5_E6data_tEPKSE_
    .private_segment_fixed_size: 0
    .sgpr_count:     31
    .sgpr_spill_count: 0
    .symbol:         _ZN9rocsparseL20kernel_calculate_cooILi1024ELi32ELb0EdiiEEvT4_T3_PKS1_S4_PKT2_21rocsparse_index_base_PKS2_SA_S4_SA_SA_S4_SA_PS5_PNS_15floating_traitsIS5_E6data_tEPKSE_.kd
    .uniform_work_group_size: 1
    .uses_dynamic_stack: false
    .vgpr_count:     23
    .vgpr_spill_count: 0
    .wavefront_size: 32
    .workgroup_processor_mode: 1
  - .args:
      - .offset:         0
        .size:           4
        .value_kind:     by_value
      - .offset:         4
        .size:           4
        .value_kind:     by_value
      - .actual_access:  read_only
        .address_space:  global
        .offset:         8
        .size:           8
        .value_kind:     global_buffer
      - .actual_access:  read_only
        .address_space:  global
        .offset:         16
        .size:           8
        .value_kind:     global_buffer
      - .actual_access:  read_only
        .address_space:  global
        .offset:         24
        .size:           8
        .value_kind:     global_buffer
      - .offset:         32
        .size:           4
        .value_kind:     by_value
      - .actual_access:  read_only
        .address_space:  global
        .offset:         40
        .size:           8
        .value_kind:     global_buffer
      - .actual_access:  read_only
        .address_space:  global
        .offset:         48
        .size:           8
        .value_kind:     global_buffer
      - .actual_access:  read_only
        .address_space:  global
        .offset:         56
        .size:           8
        .value_kind:     global_buffer
      - .actual_access:  read_only
        .address_space:  global
        .offset:         64
        .size:           8
        .value_kind:     global_buffer
      - .actual_access:  read_only
        .address_space:  global
        .offset:         72
        .size:           8
        .value_kind:     global_buffer
      - .actual_access:  read_only
        .address_space:  global
        .offset:         80
        .size:           8
        .value_kind:     global_buffer
      - .actual_access:  read_only
        .address_space:  global
        .offset:         88
        .size:           8
        .value_kind:     global_buffer
      - .address_space:  global
        .offset:         96
        .size:           8
        .value_kind:     global_buffer
      - .address_space:  global
        .offset:         104
        .size:           8
        .value_kind:     global_buffer
      - .address_space:  global
        .offset:         112
        .size:           8
        .value_kind:     global_buffer
    .group_segment_fixed_size: 0
    .kernarg_segment_align: 8
    .kernarg_segment_size: 120
    .language:       OpenCL C
    .language_version:
      - 2
      - 0
    .max_flat_workgroup_size: 1024
    .name:           _ZN9rocsparseL20kernel_calculate_cooILi1024ELi64ELb0EdiiEEvT4_T3_PKS1_S4_PKT2_21rocsparse_index_base_PKS2_SA_S4_SA_SA_S4_SA_PS5_PNS_15floating_traitsIS5_E6data_tEPKSE_
    .private_segment_fixed_size: 0
    .sgpr_count:     31
    .sgpr_spill_count: 0
    .symbol:         _ZN9rocsparseL20kernel_calculate_cooILi1024ELi64ELb0EdiiEEvT4_T3_PKS1_S4_PKT2_21rocsparse_index_base_PKS2_SA_S4_SA_SA_S4_SA_PS5_PNS_15floating_traitsIS5_E6data_tEPKSE_.kd
    .uniform_work_group_size: 1
    .uses_dynamic_stack: false
    .vgpr_count:     23
    .vgpr_spill_count: 0
    .wavefront_size: 32
    .workgroup_processor_mode: 1
  - .args:
      - .offset:         0
        .size:           4
        .value_kind:     by_value
      - .offset:         4
        .size:           4
        .value_kind:     by_value
      - .actual_access:  read_only
        .address_space:  global
        .offset:         8
        .size:           8
        .value_kind:     global_buffer
      - .actual_access:  read_only
        .address_space:  global
        .offset:         16
        .size:           8
        .value_kind:     global_buffer
      - .actual_access:  read_only
        .address_space:  global
        .offset:         24
        .size:           8
        .value_kind:     global_buffer
      - .offset:         32
        .size:           4
        .value_kind:     by_value
      - .actual_access:  read_only
        .address_space:  global
        .offset:         40
        .size:           8
        .value_kind:     global_buffer
      - .actual_access:  read_only
        .address_space:  global
        .offset:         48
        .size:           8
        .value_kind:     global_buffer
      - .actual_access:  read_only
        .address_space:  global
        .offset:         56
        .size:           8
        .value_kind:     global_buffer
      - .actual_access:  read_only
        .address_space:  global
        .offset:         64
        .size:           8
        .value_kind:     global_buffer
      - .actual_access:  read_only
        .address_space:  global
        .offset:         72
        .size:           8
        .value_kind:     global_buffer
      - .actual_access:  read_only
        .address_space:  global
        .offset:         80
        .size:           8
        .value_kind:     global_buffer
      - .actual_access:  read_only
        .address_space:  global
        .offset:         88
        .size:           8
        .value_kind:     global_buffer
      - .address_space:  global
        .offset:         96
        .size:           8
        .value_kind:     global_buffer
      - .address_space:  global
        .offset:         104
        .size:           8
        .value_kind:     global_buffer
      - .address_space:  global
        .offset:         112
        .size:           8
        .value_kind:     global_buffer
    .group_segment_fixed_size: 128
    .kernarg_segment_align: 8
    .kernarg_segment_size: 120
    .language:       OpenCL C
    .language_version:
      - 2
      - 0
    .max_flat_workgroup_size: 1024
    .name:           _ZN9rocsparseL20kernel_calculate_cooILi1024ELi32ELb1E21rocsparse_complex_numIfEiiEEvT4_T3_PKS3_S6_PKT2_21rocsparse_index_base_PKS4_SC_S6_SC_SC_S6_SC_PS7_PNS_15floating_traitsIS7_E6data_tEPKSG_
    .private_segment_fixed_size: 0
    .sgpr_count:     39
    .sgpr_spill_count: 0
    .symbol:         _ZN9rocsparseL20kernel_calculate_cooILi1024ELi32ELb1E21rocsparse_complex_numIfEiiEEvT4_T3_PKS3_S6_PKT2_21rocsparse_index_base_PKS4_SC_S6_SC_SC_S6_SC_PS7_PNS_15floating_traitsIS7_E6data_tEPKSG_.kd
    .uniform_work_group_size: 1
    .uses_dynamic_stack: false
    .vgpr_count:     25
    .vgpr_spill_count: 0
    .wavefront_size: 32
    .workgroup_processor_mode: 1
  - .args:
      - .offset:         0
        .size:           4
        .value_kind:     by_value
      - .offset:         4
        .size:           4
        .value_kind:     by_value
      - .actual_access:  read_only
        .address_space:  global
        .offset:         8
        .size:           8
        .value_kind:     global_buffer
      - .actual_access:  read_only
        .address_space:  global
        .offset:         16
        .size:           8
        .value_kind:     global_buffer
      - .actual_access:  read_only
        .address_space:  global
        .offset:         24
        .size:           8
        .value_kind:     global_buffer
      - .offset:         32
        .size:           4
        .value_kind:     by_value
      - .actual_access:  read_only
        .address_space:  global
        .offset:         40
        .size:           8
        .value_kind:     global_buffer
      - .actual_access:  read_only
        .address_space:  global
        .offset:         48
        .size:           8
        .value_kind:     global_buffer
      - .actual_access:  read_only
        .address_space:  global
        .offset:         56
        .size:           8
        .value_kind:     global_buffer
      - .actual_access:  read_only
        .address_space:  global
        .offset:         64
        .size:           8
        .value_kind:     global_buffer
      - .actual_access:  read_only
        .address_space:  global
        .offset:         72
        .size:           8
        .value_kind:     global_buffer
      - .actual_access:  read_only
        .address_space:  global
        .offset:         80
        .size:           8
        .value_kind:     global_buffer
      - .actual_access:  read_only
        .address_space:  global
        .offset:         88
        .size:           8
        .value_kind:     global_buffer
      - .address_space:  global
        .offset:         96
        .size:           8
        .value_kind:     global_buffer
      - .address_space:  global
        .offset:         104
        .size:           8
        .value_kind:     global_buffer
      - .address_space:  global
        .offset:         112
        .size:           8
        .value_kind:     global_buffer
    .group_segment_fixed_size: 64
    .kernarg_segment_align: 8
    .kernarg_segment_size: 120
    .language:       OpenCL C
    .language_version:
      - 2
      - 0
    .max_flat_workgroup_size: 1024
    .name:           _ZN9rocsparseL20kernel_calculate_cooILi1024ELi64ELb1E21rocsparse_complex_numIfEiiEEvT4_T3_PKS3_S6_PKT2_21rocsparse_index_base_PKS4_SC_S6_SC_SC_S6_SC_PS7_PNS_15floating_traitsIS7_E6data_tEPKSG_
    .private_segment_fixed_size: 0
    .sgpr_count:     39
    .sgpr_spill_count: 0
    .symbol:         _ZN9rocsparseL20kernel_calculate_cooILi1024ELi64ELb1E21rocsparse_complex_numIfEiiEEvT4_T3_PKS3_S6_PKT2_21rocsparse_index_base_PKS4_SC_S6_SC_SC_S6_SC_PS7_PNS_15floating_traitsIS7_E6data_tEPKSG_.kd
    .uniform_work_group_size: 1
    .uses_dynamic_stack: false
    .vgpr_count:     25
    .vgpr_spill_count: 0
    .wavefront_size: 32
    .workgroup_processor_mode: 1
  - .args:
      - .offset:         0
        .size:           4
        .value_kind:     by_value
      - .offset:         4
        .size:           4
        .value_kind:     by_value
      - .actual_access:  read_only
        .address_space:  global
        .offset:         8
        .size:           8
        .value_kind:     global_buffer
      - .actual_access:  read_only
        .address_space:  global
        .offset:         16
        .size:           8
        .value_kind:     global_buffer
      - .actual_access:  read_only
        .address_space:  global
        .offset:         24
        .size:           8
        .value_kind:     global_buffer
      - .actual_access:  read_only
        .address_space:  global
        .offset:         32
        .size:           8
        .value_kind:     global_buffer
      - .offset:         40
        .size:           4
        .value_kind:     by_value
      - .actual_access:  read_only
        .address_space:  global
        .offset:         48
        .size:           8
        .value_kind:     global_buffer
      - .actual_access:  read_only
        .address_space:  global
        .offset:         56
        .size:           8
        .value_kind:     global_buffer
      - .actual_access:  read_only
        .address_space:  global
        .offset:         64
        .size:           8
        .value_kind:     global_buffer
      - .actual_access:  read_only
        .address_space:  global
        .offset:         72
        .size:           8
        .value_kind:     global_buffer
      - .actual_access:  read_only
        .address_space:  global
        .offset:         80
        .size:           8
        .value_kind:     global_buffer
      - .actual_access:  read_only
        .address_space:  global
        .offset:         88
        .size:           8
        .value_kind:     global_buffer
      - .actual_access:  read_only
        .address_space:  global
        .offset:         96
        .size:           8
        .value_kind:     global_buffer
      - .address_space:  global
        .offset:         104
        .size:           8
        .value_kind:     global_buffer
      - .address_space:  global
        .offset:         112
        .size:           8
        .value_kind:     global_buffer
      - .address_space:  global
        .offset:         120
        .size:           8
        .value_kind:     global_buffer
    .group_segment_fixed_size: 4096
    .kernarg_segment_align: 8
    .kernarg_segment_size: 128
    .language:       OpenCL C
    .language_version:
      - 2
      - 0
    .max_flat_workgroup_size: 1024
    .name:           _ZN9rocsparseL16kernel_calculateILi1024ELi1ELb1E21rocsparse_complex_numIfEiiEEvT4_T3_PKS4_S6_PKS3_PKT2_21rocsparse_index_base_S6_S6_S8_S6_S6_S8_S6_PS9_PNS_15floating_traitsIS9_E6data_tEPKSG_
    .private_segment_fixed_size: 0
    .sgpr_count:     34
    .sgpr_spill_count: 0
    .symbol:         _ZN9rocsparseL16kernel_calculateILi1024ELi1ELb1E21rocsparse_complex_numIfEiiEEvT4_T3_PKS4_S6_PKS3_PKT2_21rocsparse_index_base_S6_S6_S8_S6_S6_S8_S6_PS9_PNS_15floating_traitsIS9_E6data_tEPKSG_.kd
    .uniform_work_group_size: 1
    .uses_dynamic_stack: false
    .vgpr_count:     28
    .vgpr_spill_count: 0
    .wavefront_size: 32
    .workgroup_processor_mode: 1
  - .args:
      - .offset:         0
        .size:           4
        .value_kind:     by_value
      - .offset:         4
        .size:           4
        .value_kind:     by_value
      - .actual_access:  read_only
        .address_space:  global
        .offset:         8
        .size:           8
        .value_kind:     global_buffer
      - .actual_access:  read_only
        .address_space:  global
        .offset:         16
        .size:           8
        .value_kind:     global_buffer
      - .actual_access:  read_only
        .address_space:  global
        .offset:         24
        .size:           8
        .value_kind:     global_buffer
      - .actual_access:  read_only
        .address_space:  global
        .offset:         32
        .size:           8
        .value_kind:     global_buffer
      - .offset:         40
        .size:           4
        .value_kind:     by_value
      - .actual_access:  read_only
        .address_space:  global
        .offset:         48
        .size:           8
        .value_kind:     global_buffer
      - .actual_access:  read_only
        .address_space:  global
        .offset:         56
        .size:           8
        .value_kind:     global_buffer
      - .actual_access:  read_only
        .address_space:  global
        .offset:         64
        .size:           8
        .value_kind:     global_buffer
      - .actual_access:  read_only
        .address_space:  global
        .offset:         72
        .size:           8
        .value_kind:     global_buffer
      - .actual_access:  read_only
        .address_space:  global
        .offset:         80
        .size:           8
        .value_kind:     global_buffer
      - .actual_access:  read_only
        .address_space:  global
        .offset:         88
        .size:           8
        .value_kind:     global_buffer
      - .actual_access:  read_only
        .address_space:  global
        .offset:         96
        .size:           8
        .value_kind:     global_buffer
      - .address_space:  global
        .offset:         104
        .size:           8
        .value_kind:     global_buffer
      - .address_space:  global
        .offset:         112
        .size:           8
        .value_kind:     global_buffer
      - .address_space:  global
        .offset:         120
        .size:           8
        .value_kind:     global_buffer
    .group_segment_fixed_size: 2048
    .kernarg_segment_align: 8
    .kernarg_segment_size: 128
    .language:       OpenCL C
    .language_version:
      - 2
      - 0
    .max_flat_workgroup_size: 1024
    .name:           _ZN9rocsparseL16kernel_calculateILi1024ELi2ELb1E21rocsparse_complex_numIfEiiEEvT4_T3_PKS4_S6_PKS3_PKT2_21rocsparse_index_base_S6_S6_S8_S6_S6_S8_S6_PS9_PNS_15floating_traitsIS9_E6data_tEPKSG_
    .private_segment_fixed_size: 0
    .sgpr_count:     44
    .sgpr_spill_count: 0
    .symbol:         _ZN9rocsparseL16kernel_calculateILi1024ELi2ELb1E21rocsparse_complex_numIfEiiEEvT4_T3_PKS4_S6_PKS3_PKT2_21rocsparse_index_base_S6_S6_S8_S6_S6_S8_S6_PS9_PNS_15floating_traitsIS9_E6data_tEPKSG_.kd
    .uniform_work_group_size: 1
    .uses_dynamic_stack: false
    .vgpr_count:     32
    .vgpr_spill_count: 0
    .wavefront_size: 32
    .workgroup_processor_mode: 1
  - .args:
      - .offset:         0
        .size:           4
        .value_kind:     by_value
      - .offset:         4
        .size:           4
        .value_kind:     by_value
      - .actual_access:  read_only
        .address_space:  global
        .offset:         8
        .size:           8
        .value_kind:     global_buffer
      - .actual_access:  read_only
        .address_space:  global
        .offset:         16
        .size:           8
        .value_kind:     global_buffer
      - .actual_access:  read_only
        .address_space:  global
        .offset:         24
        .size:           8
        .value_kind:     global_buffer
      - .actual_access:  read_only
        .address_space:  global
        .offset:         32
        .size:           8
        .value_kind:     global_buffer
      - .offset:         40
        .size:           4
        .value_kind:     by_value
      - .actual_access:  read_only
        .address_space:  global
        .offset:         48
        .size:           8
        .value_kind:     global_buffer
      - .actual_access:  read_only
        .address_space:  global
        .offset:         56
        .size:           8
        .value_kind:     global_buffer
      - .actual_access:  read_only
        .address_space:  global
        .offset:         64
        .size:           8
        .value_kind:     global_buffer
      - .actual_access:  read_only
        .address_space:  global
        .offset:         72
        .size:           8
        .value_kind:     global_buffer
      - .actual_access:  read_only
        .address_space:  global
        .offset:         80
        .size:           8
        .value_kind:     global_buffer
      - .actual_access:  read_only
        .address_space:  global
        .offset:         88
        .size:           8
        .value_kind:     global_buffer
      - .actual_access:  read_only
        .address_space:  global
        .offset:         96
        .size:           8
        .value_kind:     global_buffer
      - .address_space:  global
        .offset:         104
        .size:           8
        .value_kind:     global_buffer
      - .address_space:  global
        .offset:         112
        .size:           8
        .value_kind:     global_buffer
      - .address_space:  global
        .offset:         120
        .size:           8
        .value_kind:     global_buffer
    .group_segment_fixed_size: 1024
    .kernarg_segment_align: 8
    .kernarg_segment_size: 128
    .language:       OpenCL C
    .language_version:
      - 2
      - 0
    .max_flat_workgroup_size: 1024
    .name:           _ZN9rocsparseL16kernel_calculateILi1024ELi4ELb1E21rocsparse_complex_numIfEiiEEvT4_T3_PKS4_S6_PKS3_PKT2_21rocsparse_index_base_S6_S6_S8_S6_S6_S8_S6_PS9_PNS_15floating_traitsIS9_E6data_tEPKSG_
    .private_segment_fixed_size: 0
    .sgpr_count:     44
    .sgpr_spill_count: 0
    .symbol:         _ZN9rocsparseL16kernel_calculateILi1024ELi4ELb1E21rocsparse_complex_numIfEiiEEvT4_T3_PKS4_S6_PKS3_PKT2_21rocsparse_index_base_S6_S6_S8_S6_S6_S8_S6_PS9_PNS_15floating_traitsIS9_E6data_tEPKSG_.kd
    .uniform_work_group_size: 1
    .uses_dynamic_stack: false
    .vgpr_count:     32
    .vgpr_spill_count: 0
    .wavefront_size: 32
    .workgroup_processor_mode: 1
  - .args:
      - .offset:         0
        .size:           4
        .value_kind:     by_value
      - .offset:         4
        .size:           4
        .value_kind:     by_value
      - .actual_access:  read_only
        .address_space:  global
        .offset:         8
        .size:           8
        .value_kind:     global_buffer
      - .actual_access:  read_only
        .address_space:  global
        .offset:         16
        .size:           8
        .value_kind:     global_buffer
      - .actual_access:  read_only
        .address_space:  global
        .offset:         24
        .size:           8
        .value_kind:     global_buffer
      - .actual_access:  read_only
        .address_space:  global
        .offset:         32
        .size:           8
        .value_kind:     global_buffer
      - .offset:         40
        .size:           4
        .value_kind:     by_value
      - .actual_access:  read_only
        .address_space:  global
        .offset:         48
        .size:           8
        .value_kind:     global_buffer
      - .actual_access:  read_only
        .address_space:  global
        .offset:         56
        .size:           8
        .value_kind:     global_buffer
      - .actual_access:  read_only
        .address_space:  global
        .offset:         64
        .size:           8
        .value_kind:     global_buffer
      - .actual_access:  read_only
        .address_space:  global
        .offset:         72
        .size:           8
        .value_kind:     global_buffer
      - .actual_access:  read_only
        .address_space:  global
        .offset:         80
        .size:           8
        .value_kind:     global_buffer
      - .actual_access:  read_only
        .address_space:  global
        .offset:         88
        .size:           8
        .value_kind:     global_buffer
      - .actual_access:  read_only
        .address_space:  global
        .offset:         96
        .size:           8
        .value_kind:     global_buffer
      - .address_space:  global
        .offset:         104
        .size:           8
        .value_kind:     global_buffer
      - .address_space:  global
        .offset:         112
        .size:           8
        .value_kind:     global_buffer
      - .address_space:  global
        .offset:         120
        .size:           8
        .value_kind:     global_buffer
    .group_segment_fixed_size: 512
    .kernarg_segment_align: 8
    .kernarg_segment_size: 128
    .language:       OpenCL C
    .language_version:
      - 2
      - 0
    .max_flat_workgroup_size: 1024
    .name:           _ZN9rocsparseL16kernel_calculateILi1024ELi8ELb1E21rocsparse_complex_numIfEiiEEvT4_T3_PKS4_S6_PKS3_PKT2_21rocsparse_index_base_S6_S6_S8_S6_S6_S8_S6_PS9_PNS_15floating_traitsIS9_E6data_tEPKSG_
    .private_segment_fixed_size: 0
    .sgpr_count:     44
    .sgpr_spill_count: 0
    .symbol:         _ZN9rocsparseL16kernel_calculateILi1024ELi8ELb1E21rocsparse_complex_numIfEiiEEvT4_T3_PKS4_S6_PKS3_PKT2_21rocsparse_index_base_S6_S6_S8_S6_S6_S8_S6_PS9_PNS_15floating_traitsIS9_E6data_tEPKSG_.kd
    .uniform_work_group_size: 1
    .uses_dynamic_stack: false
    .vgpr_count:     32
    .vgpr_spill_count: 0
    .wavefront_size: 32
    .workgroup_processor_mode: 1
  - .args:
      - .offset:         0
        .size:           4
        .value_kind:     by_value
      - .offset:         4
        .size:           4
        .value_kind:     by_value
      - .actual_access:  read_only
        .address_space:  global
        .offset:         8
        .size:           8
        .value_kind:     global_buffer
      - .actual_access:  read_only
        .address_space:  global
        .offset:         16
        .size:           8
        .value_kind:     global_buffer
      - .actual_access:  read_only
        .address_space:  global
        .offset:         24
        .size:           8
        .value_kind:     global_buffer
      - .actual_access:  read_only
        .address_space:  global
        .offset:         32
        .size:           8
        .value_kind:     global_buffer
      - .offset:         40
        .size:           4
        .value_kind:     by_value
      - .actual_access:  read_only
        .address_space:  global
        .offset:         48
        .size:           8
        .value_kind:     global_buffer
      - .actual_access:  read_only
        .address_space:  global
        .offset:         56
        .size:           8
        .value_kind:     global_buffer
      - .actual_access:  read_only
        .address_space:  global
        .offset:         64
        .size:           8
        .value_kind:     global_buffer
      - .actual_access:  read_only
        .address_space:  global
        .offset:         72
        .size:           8
        .value_kind:     global_buffer
      - .actual_access:  read_only
        .address_space:  global
        .offset:         80
        .size:           8
        .value_kind:     global_buffer
      - .actual_access:  read_only
        .address_space:  global
        .offset:         88
        .size:           8
        .value_kind:     global_buffer
      - .actual_access:  read_only
        .address_space:  global
        .offset:         96
        .size:           8
        .value_kind:     global_buffer
      - .address_space:  global
        .offset:         104
        .size:           8
        .value_kind:     global_buffer
      - .address_space:  global
        .offset:         112
        .size:           8
        .value_kind:     global_buffer
      - .address_space:  global
        .offset:         120
        .size:           8
        .value_kind:     global_buffer
    .group_segment_fixed_size: 256
    .kernarg_segment_align: 8
    .kernarg_segment_size: 128
    .language:       OpenCL C
    .language_version:
      - 2
      - 0
    .max_flat_workgroup_size: 1024
    .name:           _ZN9rocsparseL16kernel_calculateILi1024ELi16ELb1E21rocsparse_complex_numIfEiiEEvT4_T3_PKS4_S6_PKS3_PKT2_21rocsparse_index_base_S6_S6_S8_S6_S6_S8_S6_PS9_PNS_15floating_traitsIS9_E6data_tEPKSG_
    .private_segment_fixed_size: 0
    .sgpr_count:     44
    .sgpr_spill_count: 0
    .symbol:         _ZN9rocsparseL16kernel_calculateILi1024ELi16ELb1E21rocsparse_complex_numIfEiiEEvT4_T3_PKS4_S6_PKS3_PKT2_21rocsparse_index_base_S6_S6_S8_S6_S6_S8_S6_PS9_PNS_15floating_traitsIS9_E6data_tEPKSG_.kd
    .uniform_work_group_size: 1
    .uses_dynamic_stack: false
    .vgpr_count:     32
    .vgpr_spill_count: 0
    .wavefront_size: 32
    .workgroup_processor_mode: 1
  - .args:
      - .offset:         0
        .size:           4
        .value_kind:     by_value
      - .offset:         4
        .size:           4
        .value_kind:     by_value
      - .actual_access:  read_only
        .address_space:  global
        .offset:         8
        .size:           8
        .value_kind:     global_buffer
      - .actual_access:  read_only
        .address_space:  global
        .offset:         16
        .size:           8
        .value_kind:     global_buffer
      - .actual_access:  read_only
        .address_space:  global
        .offset:         24
        .size:           8
        .value_kind:     global_buffer
      - .actual_access:  read_only
        .address_space:  global
        .offset:         32
        .size:           8
        .value_kind:     global_buffer
      - .offset:         40
        .size:           4
        .value_kind:     by_value
      - .actual_access:  read_only
        .address_space:  global
        .offset:         48
        .size:           8
        .value_kind:     global_buffer
      - .actual_access:  read_only
        .address_space:  global
        .offset:         56
        .size:           8
        .value_kind:     global_buffer
      - .actual_access:  read_only
        .address_space:  global
        .offset:         64
        .size:           8
        .value_kind:     global_buffer
      - .actual_access:  read_only
        .address_space:  global
        .offset:         72
        .size:           8
        .value_kind:     global_buffer
      - .actual_access:  read_only
        .address_space:  global
        .offset:         80
        .size:           8
        .value_kind:     global_buffer
      - .actual_access:  read_only
        .address_space:  global
        .offset:         88
        .size:           8
        .value_kind:     global_buffer
      - .actual_access:  read_only
        .address_space:  global
        .offset:         96
        .size:           8
        .value_kind:     global_buffer
      - .address_space:  global
        .offset:         104
        .size:           8
        .value_kind:     global_buffer
      - .address_space:  global
        .offset:         112
        .size:           8
        .value_kind:     global_buffer
      - .address_space:  global
        .offset:         120
        .size:           8
        .value_kind:     global_buffer
    .group_segment_fixed_size: 128
    .kernarg_segment_align: 8
    .kernarg_segment_size: 128
    .language:       OpenCL C
    .language_version:
      - 2
      - 0
    .max_flat_workgroup_size: 1024
    .name:           _ZN9rocsparseL16kernel_calculateILi1024ELi32ELb1E21rocsparse_complex_numIfEiiEEvT4_T3_PKS4_S6_PKS3_PKT2_21rocsparse_index_base_S6_S6_S8_S6_S6_S8_S6_PS9_PNS_15floating_traitsIS9_E6data_tEPKSG_
    .private_segment_fixed_size: 0
    .sgpr_count:     44
    .sgpr_spill_count: 0
    .symbol:         _ZN9rocsparseL16kernel_calculateILi1024ELi32ELb1E21rocsparse_complex_numIfEiiEEvT4_T3_PKS4_S6_PKS3_PKT2_21rocsparse_index_base_S6_S6_S8_S6_S6_S8_S6_PS9_PNS_15floating_traitsIS9_E6data_tEPKSG_.kd
    .uniform_work_group_size: 1
    .uses_dynamic_stack: false
    .vgpr_count:     32
    .vgpr_spill_count: 0
    .wavefront_size: 32
    .workgroup_processor_mode: 1
  - .args:
      - .offset:         0
        .size:           4
        .value_kind:     by_value
      - .offset:         4
        .size:           4
        .value_kind:     by_value
      - .actual_access:  read_only
        .address_space:  global
        .offset:         8
        .size:           8
        .value_kind:     global_buffer
      - .actual_access:  read_only
        .address_space:  global
        .offset:         16
        .size:           8
        .value_kind:     global_buffer
      - .actual_access:  read_only
        .address_space:  global
        .offset:         24
        .size:           8
        .value_kind:     global_buffer
      - .actual_access:  read_only
        .address_space:  global
        .offset:         32
        .size:           8
        .value_kind:     global_buffer
      - .offset:         40
        .size:           4
        .value_kind:     by_value
      - .actual_access:  read_only
        .address_space:  global
        .offset:         48
        .size:           8
        .value_kind:     global_buffer
      - .actual_access:  read_only
        .address_space:  global
        .offset:         56
        .size:           8
        .value_kind:     global_buffer
      - .actual_access:  read_only
        .address_space:  global
        .offset:         64
        .size:           8
        .value_kind:     global_buffer
      - .actual_access:  read_only
        .address_space:  global
        .offset:         72
        .size:           8
        .value_kind:     global_buffer
      - .actual_access:  read_only
        .address_space:  global
        .offset:         80
        .size:           8
        .value_kind:     global_buffer
      - .actual_access:  read_only
        .address_space:  global
        .offset:         88
        .size:           8
        .value_kind:     global_buffer
      - .actual_access:  read_only
        .address_space:  global
        .offset:         96
        .size:           8
        .value_kind:     global_buffer
      - .address_space:  global
        .offset:         104
        .size:           8
        .value_kind:     global_buffer
      - .address_space:  global
        .offset:         112
        .size:           8
        .value_kind:     global_buffer
      - .address_space:  global
        .offset:         120
        .size:           8
        .value_kind:     global_buffer
    .group_segment_fixed_size: 64
    .kernarg_segment_align: 8
    .kernarg_segment_size: 128
    .language:       OpenCL C
    .language_version:
      - 2
      - 0
    .max_flat_workgroup_size: 1024
    .name:           _ZN9rocsparseL16kernel_calculateILi1024ELi64ELb1E21rocsparse_complex_numIfEiiEEvT4_T3_PKS4_S6_PKS3_PKT2_21rocsparse_index_base_S6_S6_S8_S6_S6_S8_S6_PS9_PNS_15floating_traitsIS9_E6data_tEPKSG_
    .private_segment_fixed_size: 0
    .sgpr_count:     44
    .sgpr_spill_count: 0
    .symbol:         _ZN9rocsparseL16kernel_calculateILi1024ELi64ELb1E21rocsparse_complex_numIfEiiEEvT4_T3_PKS4_S6_PKS3_PKT2_21rocsparse_index_base_S6_S6_S8_S6_S6_S8_S6_PS9_PNS_15floating_traitsIS9_E6data_tEPKSG_.kd
    .uniform_work_group_size: 1
    .uses_dynamic_stack: false
    .vgpr_count:     32
    .vgpr_spill_count: 0
    .wavefront_size: 32
    .workgroup_processor_mode: 1
  - .args:
      - .offset:         0
        .size:           4
        .value_kind:     by_value
      - .offset:         4
        .size:           4
        .value_kind:     by_value
      - .actual_access:  read_only
        .address_space:  global
        .offset:         8
        .size:           8
        .value_kind:     global_buffer
      - .actual_access:  read_only
        .address_space:  global
        .offset:         16
        .size:           8
        .value_kind:     global_buffer
      - .actual_access:  read_only
        .address_space:  global
        .offset:         24
        .size:           8
        .value_kind:     global_buffer
      - .actual_access:  read_only
        .address_space:  global
        .offset:         32
        .size:           8
        .value_kind:     global_buffer
      - .offset:         40
        .size:           4
        .value_kind:     by_value
      - .actual_access:  read_only
        .address_space:  global
        .offset:         48
        .size:           8
        .value_kind:     global_buffer
      - .actual_access:  read_only
        .address_space:  global
        .offset:         56
        .size:           8
        .value_kind:     global_buffer
      - .actual_access:  read_only
        .address_space:  global
        .offset:         64
        .size:           8
        .value_kind:     global_buffer
      - .actual_access:  read_only
        .address_space:  global
        .offset:         72
        .size:           8
        .value_kind:     global_buffer
      - .actual_access:  read_only
        .address_space:  global
        .offset:         80
        .size:           8
        .value_kind:     global_buffer
      - .actual_access:  read_only
        .address_space:  global
        .offset:         88
        .size:           8
        .value_kind:     global_buffer
      - .actual_access:  read_only
        .address_space:  global
        .offset:         96
        .size:           8
        .value_kind:     global_buffer
      - .address_space:  global
        .offset:         104
        .size:           8
        .value_kind:     global_buffer
      - .address_space:  global
        .offset:         112
        .size:           8
        .value_kind:     global_buffer
      - .address_space:  global
        .offset:         120
        .size:           8
        .value_kind:     global_buffer
    .group_segment_fixed_size: 0
    .kernarg_segment_align: 8
    .kernarg_segment_size: 128
    .language:       OpenCL C
    .language_version:
      - 2
      - 0
    .max_flat_workgroup_size: 1024
    .name:           _ZN9rocsparseL16kernel_calculateILi1024ELi1ELb0E21rocsparse_complex_numIfEiiEEvT4_T3_PKS4_S6_PKS3_PKT2_21rocsparse_index_base_S6_S6_S8_S6_S6_S8_S6_PS9_PNS_15floating_traitsIS9_E6data_tEPKSG_
    .private_segment_fixed_size: 0
    .sgpr_count:     26
    .sgpr_spill_count: 0
    .symbol:         _ZN9rocsparseL16kernel_calculateILi1024ELi1ELb0E21rocsparse_complex_numIfEiiEEvT4_T3_PKS4_S6_PKS3_PKT2_21rocsparse_index_base_S6_S6_S8_S6_S6_S8_S6_PS9_PNS_15floating_traitsIS9_E6data_tEPKSG_.kd
    .uniform_work_group_size: 1
    .uses_dynamic_stack: false
    .vgpr_count:     25
    .vgpr_spill_count: 0
    .wavefront_size: 32
    .workgroup_processor_mode: 1
  - .args:
      - .offset:         0
        .size:           4
        .value_kind:     by_value
      - .offset:         4
        .size:           4
        .value_kind:     by_value
      - .actual_access:  read_only
        .address_space:  global
        .offset:         8
        .size:           8
        .value_kind:     global_buffer
      - .actual_access:  read_only
        .address_space:  global
        .offset:         16
        .size:           8
        .value_kind:     global_buffer
      - .actual_access:  read_only
        .address_space:  global
        .offset:         24
        .size:           8
        .value_kind:     global_buffer
      - .actual_access:  read_only
        .address_space:  global
        .offset:         32
        .size:           8
        .value_kind:     global_buffer
      - .offset:         40
        .size:           4
        .value_kind:     by_value
      - .actual_access:  read_only
        .address_space:  global
        .offset:         48
        .size:           8
        .value_kind:     global_buffer
      - .actual_access:  read_only
        .address_space:  global
        .offset:         56
        .size:           8
        .value_kind:     global_buffer
      - .actual_access:  read_only
        .address_space:  global
        .offset:         64
        .size:           8
        .value_kind:     global_buffer
      - .actual_access:  read_only
        .address_space:  global
        .offset:         72
        .size:           8
        .value_kind:     global_buffer
      - .actual_access:  read_only
        .address_space:  global
        .offset:         80
        .size:           8
        .value_kind:     global_buffer
      - .actual_access:  read_only
        .address_space:  global
        .offset:         88
        .size:           8
        .value_kind:     global_buffer
      - .actual_access:  read_only
        .address_space:  global
        .offset:         96
        .size:           8
        .value_kind:     global_buffer
      - .address_space:  global
        .offset:         104
        .size:           8
        .value_kind:     global_buffer
      - .address_space:  global
        .offset:         112
        .size:           8
        .value_kind:     global_buffer
      - .address_space:  global
        .offset:         120
        .size:           8
        .value_kind:     global_buffer
    .group_segment_fixed_size: 0
    .kernarg_segment_align: 8
    .kernarg_segment_size: 128
    .language:       OpenCL C
    .language_version:
      - 2
      - 0
    .max_flat_workgroup_size: 1024
    .name:           _ZN9rocsparseL16kernel_calculateILi1024ELi2ELb0E21rocsparse_complex_numIfEiiEEvT4_T3_PKS4_S6_PKS3_PKT2_21rocsparse_index_base_S6_S6_S8_S6_S6_S8_S6_PS9_PNS_15floating_traitsIS9_E6data_tEPKSG_
    .private_segment_fixed_size: 0
    .sgpr_count:     30
    .sgpr_spill_count: 0
    .symbol:         _ZN9rocsparseL16kernel_calculateILi1024ELi2ELb0E21rocsparse_complex_numIfEiiEEvT4_T3_PKS4_S6_PKS3_PKT2_21rocsparse_index_base_S6_S6_S8_S6_S6_S8_S6_PS9_PNS_15floating_traitsIS9_E6data_tEPKSG_.kd
    .uniform_work_group_size: 1
    .uses_dynamic_stack: false
    .vgpr_count:     32
    .vgpr_spill_count: 0
    .wavefront_size: 32
    .workgroup_processor_mode: 1
  - .args:
      - .offset:         0
        .size:           4
        .value_kind:     by_value
      - .offset:         4
        .size:           4
        .value_kind:     by_value
      - .actual_access:  read_only
        .address_space:  global
        .offset:         8
        .size:           8
        .value_kind:     global_buffer
      - .actual_access:  read_only
        .address_space:  global
        .offset:         16
        .size:           8
        .value_kind:     global_buffer
      - .actual_access:  read_only
        .address_space:  global
        .offset:         24
        .size:           8
        .value_kind:     global_buffer
      - .actual_access:  read_only
        .address_space:  global
        .offset:         32
        .size:           8
        .value_kind:     global_buffer
      - .offset:         40
        .size:           4
        .value_kind:     by_value
      - .actual_access:  read_only
        .address_space:  global
        .offset:         48
        .size:           8
        .value_kind:     global_buffer
      - .actual_access:  read_only
        .address_space:  global
        .offset:         56
        .size:           8
        .value_kind:     global_buffer
      - .actual_access:  read_only
        .address_space:  global
        .offset:         64
        .size:           8
        .value_kind:     global_buffer
      - .actual_access:  read_only
        .address_space:  global
        .offset:         72
        .size:           8
        .value_kind:     global_buffer
      - .actual_access:  read_only
        .address_space:  global
        .offset:         80
        .size:           8
        .value_kind:     global_buffer
      - .actual_access:  read_only
        .address_space:  global
        .offset:         88
        .size:           8
        .value_kind:     global_buffer
      - .actual_access:  read_only
        .address_space:  global
        .offset:         96
        .size:           8
        .value_kind:     global_buffer
      - .address_space:  global
        .offset:         104
        .size:           8
        .value_kind:     global_buffer
      - .address_space:  global
        .offset:         112
        .size:           8
        .value_kind:     global_buffer
      - .address_space:  global
        .offset:         120
        .size:           8
        .value_kind:     global_buffer
    .group_segment_fixed_size: 0
    .kernarg_segment_align: 8
    .kernarg_segment_size: 128
    .language:       OpenCL C
    .language_version:
      - 2
      - 0
    .max_flat_workgroup_size: 1024
    .name:           _ZN9rocsparseL16kernel_calculateILi1024ELi4ELb0E21rocsparse_complex_numIfEiiEEvT4_T3_PKS4_S6_PKS3_PKT2_21rocsparse_index_base_S6_S6_S8_S6_S6_S8_S6_PS9_PNS_15floating_traitsIS9_E6data_tEPKSG_
    .private_segment_fixed_size: 0
    .sgpr_count:     36
    .sgpr_spill_count: 0
    .symbol:         _ZN9rocsparseL16kernel_calculateILi1024ELi4ELb0E21rocsparse_complex_numIfEiiEEvT4_T3_PKS4_S6_PKS3_PKT2_21rocsparse_index_base_S6_S6_S8_S6_S6_S8_S6_PS9_PNS_15floating_traitsIS9_E6data_tEPKSG_.kd
    .uniform_work_group_size: 1
    .uses_dynamic_stack: false
    .vgpr_count:     27
    .vgpr_spill_count: 0
    .wavefront_size: 32
    .workgroup_processor_mode: 1
  - .args:
      - .offset:         0
        .size:           4
        .value_kind:     by_value
      - .offset:         4
        .size:           4
        .value_kind:     by_value
      - .actual_access:  read_only
        .address_space:  global
        .offset:         8
        .size:           8
        .value_kind:     global_buffer
      - .actual_access:  read_only
        .address_space:  global
        .offset:         16
        .size:           8
        .value_kind:     global_buffer
      - .actual_access:  read_only
        .address_space:  global
        .offset:         24
        .size:           8
        .value_kind:     global_buffer
      - .actual_access:  read_only
        .address_space:  global
        .offset:         32
        .size:           8
        .value_kind:     global_buffer
      - .offset:         40
        .size:           4
        .value_kind:     by_value
      - .actual_access:  read_only
        .address_space:  global
        .offset:         48
        .size:           8
        .value_kind:     global_buffer
      - .actual_access:  read_only
        .address_space:  global
        .offset:         56
        .size:           8
        .value_kind:     global_buffer
      - .actual_access:  read_only
        .address_space:  global
        .offset:         64
        .size:           8
        .value_kind:     global_buffer
      - .actual_access:  read_only
        .address_space:  global
        .offset:         72
        .size:           8
        .value_kind:     global_buffer
      - .actual_access:  read_only
        .address_space:  global
        .offset:         80
        .size:           8
        .value_kind:     global_buffer
      - .actual_access:  read_only
        .address_space:  global
        .offset:         88
        .size:           8
        .value_kind:     global_buffer
      - .actual_access:  read_only
        .address_space:  global
        .offset:         96
        .size:           8
        .value_kind:     global_buffer
      - .address_space:  global
        .offset:         104
        .size:           8
        .value_kind:     global_buffer
      - .address_space:  global
        .offset:         112
        .size:           8
        .value_kind:     global_buffer
      - .address_space:  global
        .offset:         120
        .size:           8
        .value_kind:     global_buffer
    .group_segment_fixed_size: 0
    .kernarg_segment_align: 8
    .kernarg_segment_size: 128
    .language:       OpenCL C
    .language_version:
      - 2
      - 0
    .max_flat_workgroup_size: 1024
    .name:           _ZN9rocsparseL16kernel_calculateILi1024ELi8ELb0E21rocsparse_complex_numIfEiiEEvT4_T3_PKS4_S6_PKS3_PKT2_21rocsparse_index_base_S6_S6_S8_S6_S6_S8_S6_PS9_PNS_15floating_traitsIS9_E6data_tEPKSG_
    .private_segment_fixed_size: 0
    .sgpr_count:     36
    .sgpr_spill_count: 0
    .symbol:         _ZN9rocsparseL16kernel_calculateILi1024ELi8ELb0E21rocsparse_complex_numIfEiiEEvT4_T3_PKS4_S6_PKS3_PKT2_21rocsparse_index_base_S6_S6_S8_S6_S6_S8_S6_PS9_PNS_15floating_traitsIS9_E6data_tEPKSG_.kd
    .uniform_work_group_size: 1
    .uses_dynamic_stack: false
    .vgpr_count:     27
    .vgpr_spill_count: 0
    .wavefront_size: 32
    .workgroup_processor_mode: 1
  - .args:
      - .offset:         0
        .size:           4
        .value_kind:     by_value
      - .offset:         4
        .size:           4
        .value_kind:     by_value
      - .actual_access:  read_only
        .address_space:  global
        .offset:         8
        .size:           8
        .value_kind:     global_buffer
      - .actual_access:  read_only
        .address_space:  global
        .offset:         16
        .size:           8
        .value_kind:     global_buffer
      - .actual_access:  read_only
        .address_space:  global
        .offset:         24
        .size:           8
        .value_kind:     global_buffer
      - .actual_access:  read_only
        .address_space:  global
        .offset:         32
        .size:           8
        .value_kind:     global_buffer
      - .offset:         40
        .size:           4
        .value_kind:     by_value
      - .actual_access:  read_only
        .address_space:  global
        .offset:         48
        .size:           8
        .value_kind:     global_buffer
      - .actual_access:  read_only
        .address_space:  global
        .offset:         56
        .size:           8
        .value_kind:     global_buffer
      - .actual_access:  read_only
        .address_space:  global
        .offset:         64
        .size:           8
        .value_kind:     global_buffer
      - .actual_access:  read_only
        .address_space:  global
        .offset:         72
        .size:           8
        .value_kind:     global_buffer
      - .actual_access:  read_only
        .address_space:  global
        .offset:         80
        .size:           8
        .value_kind:     global_buffer
      - .actual_access:  read_only
        .address_space:  global
        .offset:         88
        .size:           8
        .value_kind:     global_buffer
      - .actual_access:  read_only
        .address_space:  global
        .offset:         96
        .size:           8
        .value_kind:     global_buffer
      - .address_space:  global
        .offset:         104
        .size:           8
        .value_kind:     global_buffer
      - .address_space:  global
        .offset:         112
        .size:           8
        .value_kind:     global_buffer
      - .address_space:  global
        .offset:         120
        .size:           8
        .value_kind:     global_buffer
    .group_segment_fixed_size: 0
    .kernarg_segment_align: 8
    .kernarg_segment_size: 128
    .language:       OpenCL C
    .language_version:
      - 2
      - 0
    .max_flat_workgroup_size: 1024
    .name:           _ZN9rocsparseL16kernel_calculateILi1024ELi16ELb0E21rocsparse_complex_numIfEiiEEvT4_T3_PKS4_S6_PKS3_PKT2_21rocsparse_index_base_S6_S6_S8_S6_S6_S8_S6_PS9_PNS_15floating_traitsIS9_E6data_tEPKSG_
    .private_segment_fixed_size: 0
    .sgpr_count:     36
    .sgpr_spill_count: 0
    .symbol:         _ZN9rocsparseL16kernel_calculateILi1024ELi16ELb0E21rocsparse_complex_numIfEiiEEvT4_T3_PKS4_S6_PKS3_PKT2_21rocsparse_index_base_S6_S6_S8_S6_S6_S8_S6_PS9_PNS_15floating_traitsIS9_E6data_tEPKSG_.kd
    .uniform_work_group_size: 1
    .uses_dynamic_stack: false
    .vgpr_count:     27
    .vgpr_spill_count: 0
    .wavefront_size: 32
    .workgroup_processor_mode: 1
  - .args:
      - .offset:         0
        .size:           4
        .value_kind:     by_value
      - .offset:         4
        .size:           4
        .value_kind:     by_value
      - .actual_access:  read_only
        .address_space:  global
        .offset:         8
        .size:           8
        .value_kind:     global_buffer
      - .actual_access:  read_only
        .address_space:  global
        .offset:         16
        .size:           8
        .value_kind:     global_buffer
      - .actual_access:  read_only
        .address_space:  global
        .offset:         24
        .size:           8
        .value_kind:     global_buffer
      - .actual_access:  read_only
        .address_space:  global
        .offset:         32
        .size:           8
        .value_kind:     global_buffer
      - .offset:         40
        .size:           4
        .value_kind:     by_value
      - .actual_access:  read_only
        .address_space:  global
        .offset:         48
        .size:           8
        .value_kind:     global_buffer
      - .actual_access:  read_only
        .address_space:  global
        .offset:         56
        .size:           8
        .value_kind:     global_buffer
      - .actual_access:  read_only
        .address_space:  global
        .offset:         64
        .size:           8
        .value_kind:     global_buffer
      - .actual_access:  read_only
        .address_space:  global
        .offset:         72
        .size:           8
        .value_kind:     global_buffer
      - .actual_access:  read_only
        .address_space:  global
        .offset:         80
        .size:           8
        .value_kind:     global_buffer
      - .actual_access:  read_only
        .address_space:  global
        .offset:         88
        .size:           8
        .value_kind:     global_buffer
      - .actual_access:  read_only
        .address_space:  global
        .offset:         96
        .size:           8
        .value_kind:     global_buffer
      - .address_space:  global
        .offset:         104
        .size:           8
        .value_kind:     global_buffer
      - .address_space:  global
        .offset:         112
        .size:           8
        .value_kind:     global_buffer
      - .address_space:  global
        .offset:         120
        .size:           8
        .value_kind:     global_buffer
    .group_segment_fixed_size: 0
    .kernarg_segment_align: 8
    .kernarg_segment_size: 128
    .language:       OpenCL C
    .language_version:
      - 2
      - 0
    .max_flat_workgroup_size: 1024
    .name:           _ZN9rocsparseL16kernel_calculateILi1024ELi32ELb0E21rocsparse_complex_numIfEiiEEvT4_T3_PKS4_S6_PKS3_PKT2_21rocsparse_index_base_S6_S6_S8_S6_S6_S8_S6_PS9_PNS_15floating_traitsIS9_E6data_tEPKSG_
    .private_segment_fixed_size: 0
    .sgpr_count:     36
    .sgpr_spill_count: 0
    .symbol:         _ZN9rocsparseL16kernel_calculateILi1024ELi32ELb0E21rocsparse_complex_numIfEiiEEvT4_T3_PKS4_S6_PKS3_PKT2_21rocsparse_index_base_S6_S6_S8_S6_S6_S8_S6_PS9_PNS_15floating_traitsIS9_E6data_tEPKSG_.kd
    .uniform_work_group_size: 1
    .uses_dynamic_stack: false
    .vgpr_count:     27
    .vgpr_spill_count: 0
    .wavefront_size: 32
    .workgroup_processor_mode: 1
  - .args:
      - .offset:         0
        .size:           4
        .value_kind:     by_value
      - .offset:         4
        .size:           4
        .value_kind:     by_value
      - .actual_access:  read_only
        .address_space:  global
        .offset:         8
        .size:           8
        .value_kind:     global_buffer
      - .actual_access:  read_only
        .address_space:  global
        .offset:         16
        .size:           8
        .value_kind:     global_buffer
      - .actual_access:  read_only
        .address_space:  global
        .offset:         24
        .size:           8
        .value_kind:     global_buffer
      - .actual_access:  read_only
        .address_space:  global
        .offset:         32
        .size:           8
        .value_kind:     global_buffer
      - .offset:         40
        .size:           4
        .value_kind:     by_value
      - .actual_access:  read_only
        .address_space:  global
        .offset:         48
        .size:           8
        .value_kind:     global_buffer
      - .actual_access:  read_only
        .address_space:  global
        .offset:         56
        .size:           8
        .value_kind:     global_buffer
      - .actual_access:  read_only
        .address_space:  global
        .offset:         64
        .size:           8
        .value_kind:     global_buffer
      - .actual_access:  read_only
        .address_space:  global
        .offset:         72
        .size:           8
        .value_kind:     global_buffer
      - .actual_access:  read_only
        .address_space:  global
        .offset:         80
        .size:           8
        .value_kind:     global_buffer
      - .actual_access:  read_only
        .address_space:  global
        .offset:         88
        .size:           8
        .value_kind:     global_buffer
      - .actual_access:  read_only
        .address_space:  global
        .offset:         96
        .size:           8
        .value_kind:     global_buffer
      - .address_space:  global
        .offset:         104
        .size:           8
        .value_kind:     global_buffer
      - .address_space:  global
        .offset:         112
        .size:           8
        .value_kind:     global_buffer
      - .address_space:  global
        .offset:         120
        .size:           8
        .value_kind:     global_buffer
    .group_segment_fixed_size: 0
    .kernarg_segment_align: 8
    .kernarg_segment_size: 128
    .language:       OpenCL C
    .language_version:
      - 2
      - 0
    .max_flat_workgroup_size: 1024
    .name:           _ZN9rocsparseL16kernel_calculateILi1024ELi64ELb0E21rocsparse_complex_numIfEiiEEvT4_T3_PKS4_S6_PKS3_PKT2_21rocsparse_index_base_S6_S6_S8_S6_S6_S8_S6_PS9_PNS_15floating_traitsIS9_E6data_tEPKSG_
    .private_segment_fixed_size: 0
    .sgpr_count:     36
    .sgpr_spill_count: 0
    .symbol:         _ZN9rocsparseL16kernel_calculateILi1024ELi64ELb0E21rocsparse_complex_numIfEiiEEvT4_T3_PKS4_S6_PKS3_PKT2_21rocsparse_index_base_S6_S6_S8_S6_S6_S8_S6_PS9_PNS_15floating_traitsIS9_E6data_tEPKSG_.kd
    .uniform_work_group_size: 1
    .uses_dynamic_stack: false
    .vgpr_count:     27
    .vgpr_spill_count: 0
    .wavefront_size: 32
    .workgroup_processor_mode: 1
  - .args:
      - .offset:         0
        .size:           4
        .value_kind:     by_value
      - .offset:         4
        .size:           4
        .value_kind:     by_value
      - .actual_access:  read_only
        .address_space:  global
        .offset:         8
        .size:           8
        .value_kind:     global_buffer
      - .actual_access:  read_only
        .address_space:  global
        .offset:         16
        .size:           8
        .value_kind:     global_buffer
      - .actual_access:  read_only
        .address_space:  global
        .offset:         24
        .size:           8
        .value_kind:     global_buffer
      - .offset:         32
        .size:           4
        .value_kind:     by_value
      - .actual_access:  read_only
        .address_space:  global
        .offset:         40
        .size:           8
        .value_kind:     global_buffer
      - .actual_access:  read_only
        .address_space:  global
        .offset:         48
        .size:           8
        .value_kind:     global_buffer
      - .actual_access:  read_only
        .address_space:  global
        .offset:         56
        .size:           8
        .value_kind:     global_buffer
      - .actual_access:  read_only
        .address_space:  global
        .offset:         64
        .size:           8
        .value_kind:     global_buffer
      - .actual_access:  read_only
        .address_space:  global
        .offset:         72
        .size:           8
        .value_kind:     global_buffer
      - .actual_access:  read_only
        .address_space:  global
        .offset:         80
        .size:           8
        .value_kind:     global_buffer
      - .actual_access:  read_only
        .address_space:  global
        .offset:         88
        .size:           8
        .value_kind:     global_buffer
      - .address_space:  global
        .offset:         96
        .size:           8
        .value_kind:     global_buffer
      - .address_space:  global
        .offset:         104
        .size:           8
        .value_kind:     global_buffer
      - .address_space:  global
        .offset:         112
        .size:           8
        .value_kind:     global_buffer
    .group_segment_fixed_size: 0
    .kernarg_segment_align: 8
    .kernarg_segment_size: 120
    .language:       OpenCL C
    .language_version:
      - 2
      - 0
    .max_flat_workgroup_size: 1024
    .name:           _ZN9rocsparseL20kernel_calculate_cooILi1024ELi32ELb0E21rocsparse_complex_numIfEiiEEvT4_T3_PKS3_S6_PKT2_21rocsparse_index_base_PKS4_SC_S6_SC_SC_S6_SC_PS7_PNS_15floating_traitsIS7_E6data_tEPKSG_
    .private_segment_fixed_size: 0
    .sgpr_count:     31
    .sgpr_spill_count: 0
    .symbol:         _ZN9rocsparseL20kernel_calculate_cooILi1024ELi32ELb0E21rocsparse_complex_numIfEiiEEvT4_T3_PKS3_S6_PKT2_21rocsparse_index_base_PKS4_SC_S6_SC_SC_S6_SC_PS7_PNS_15floating_traitsIS7_E6data_tEPKSG_.kd
    .uniform_work_group_size: 1
    .uses_dynamic_stack: false
    .vgpr_count:     23
    .vgpr_spill_count: 0
    .wavefront_size: 32
    .workgroup_processor_mode: 1
  - .args:
      - .offset:         0
        .size:           4
        .value_kind:     by_value
      - .offset:         4
        .size:           4
        .value_kind:     by_value
      - .actual_access:  read_only
        .address_space:  global
        .offset:         8
        .size:           8
        .value_kind:     global_buffer
      - .actual_access:  read_only
        .address_space:  global
        .offset:         16
        .size:           8
        .value_kind:     global_buffer
      - .actual_access:  read_only
        .address_space:  global
        .offset:         24
        .size:           8
        .value_kind:     global_buffer
      - .offset:         32
        .size:           4
        .value_kind:     by_value
      - .actual_access:  read_only
        .address_space:  global
        .offset:         40
        .size:           8
        .value_kind:     global_buffer
      - .actual_access:  read_only
        .address_space:  global
        .offset:         48
        .size:           8
        .value_kind:     global_buffer
      - .actual_access:  read_only
        .address_space:  global
        .offset:         56
        .size:           8
        .value_kind:     global_buffer
      - .actual_access:  read_only
        .address_space:  global
        .offset:         64
        .size:           8
        .value_kind:     global_buffer
      - .actual_access:  read_only
        .address_space:  global
        .offset:         72
        .size:           8
        .value_kind:     global_buffer
      - .actual_access:  read_only
        .address_space:  global
        .offset:         80
        .size:           8
        .value_kind:     global_buffer
      - .actual_access:  read_only
        .address_space:  global
        .offset:         88
        .size:           8
        .value_kind:     global_buffer
      - .address_space:  global
        .offset:         96
        .size:           8
        .value_kind:     global_buffer
      - .address_space:  global
        .offset:         104
        .size:           8
        .value_kind:     global_buffer
      - .address_space:  global
        .offset:         112
        .size:           8
        .value_kind:     global_buffer
    .group_segment_fixed_size: 0
    .kernarg_segment_align: 8
    .kernarg_segment_size: 120
    .language:       OpenCL C
    .language_version:
      - 2
      - 0
    .max_flat_workgroup_size: 1024
    .name:           _ZN9rocsparseL20kernel_calculate_cooILi1024ELi64ELb0E21rocsparse_complex_numIfEiiEEvT4_T3_PKS3_S6_PKT2_21rocsparse_index_base_PKS4_SC_S6_SC_SC_S6_SC_PS7_PNS_15floating_traitsIS7_E6data_tEPKSG_
    .private_segment_fixed_size: 0
    .sgpr_count:     31
    .sgpr_spill_count: 0
    .symbol:         _ZN9rocsparseL20kernel_calculate_cooILi1024ELi64ELb0E21rocsparse_complex_numIfEiiEEvT4_T3_PKS3_S6_PKT2_21rocsparse_index_base_PKS4_SC_S6_SC_SC_S6_SC_PS7_PNS_15floating_traitsIS7_E6data_tEPKSG_.kd
    .uniform_work_group_size: 1
    .uses_dynamic_stack: false
    .vgpr_count:     23
    .vgpr_spill_count: 0
    .wavefront_size: 32
    .workgroup_processor_mode: 1
  - .args:
      - .offset:         0
        .size:           4
        .value_kind:     by_value
      - .offset:         4
        .size:           4
        .value_kind:     by_value
      - .actual_access:  read_only
        .address_space:  global
        .offset:         8
        .size:           8
        .value_kind:     global_buffer
      - .actual_access:  read_only
        .address_space:  global
        .offset:         16
        .size:           8
        .value_kind:     global_buffer
      - .actual_access:  read_only
        .address_space:  global
        .offset:         24
        .size:           8
        .value_kind:     global_buffer
      - .offset:         32
        .size:           4
        .value_kind:     by_value
      - .actual_access:  read_only
        .address_space:  global
        .offset:         40
        .size:           8
        .value_kind:     global_buffer
      - .actual_access:  read_only
        .address_space:  global
        .offset:         48
        .size:           8
        .value_kind:     global_buffer
      - .actual_access:  read_only
        .address_space:  global
        .offset:         56
        .size:           8
        .value_kind:     global_buffer
      - .actual_access:  read_only
        .address_space:  global
        .offset:         64
        .size:           8
        .value_kind:     global_buffer
      - .actual_access:  read_only
        .address_space:  global
        .offset:         72
        .size:           8
        .value_kind:     global_buffer
      - .actual_access:  read_only
        .address_space:  global
        .offset:         80
        .size:           8
        .value_kind:     global_buffer
      - .actual_access:  read_only
        .address_space:  global
        .offset:         88
        .size:           8
        .value_kind:     global_buffer
      - .address_space:  global
        .offset:         96
        .size:           8
        .value_kind:     global_buffer
      - .address_space:  global
        .offset:         104
        .size:           8
        .value_kind:     global_buffer
      - .address_space:  global
        .offset:         112
        .size:           8
        .value_kind:     global_buffer
    .group_segment_fixed_size: 256
    .kernarg_segment_align: 8
    .kernarg_segment_size: 120
    .language:       OpenCL C
    .language_version:
      - 2
      - 0
    .max_flat_workgroup_size: 1024
    .name:           _ZN9rocsparseL20kernel_calculate_cooILi1024ELi32ELb1E21rocsparse_complex_numIdEiiEEvT4_T3_PKS3_S6_PKT2_21rocsparse_index_base_PKS4_SC_S6_SC_SC_S6_SC_PS7_PNS_15floating_traitsIS7_E6data_tEPKSG_
    .private_segment_fixed_size: 0
    .sgpr_count:     39
    .sgpr_spill_count: 0
    .symbol:         _ZN9rocsparseL20kernel_calculate_cooILi1024ELi32ELb1E21rocsparse_complex_numIdEiiEEvT4_T3_PKS3_S6_PKT2_21rocsparse_index_base_PKS4_SC_S6_SC_SC_S6_SC_PS7_PNS_15floating_traitsIS7_E6data_tEPKSG_.kd
    .uniform_work_group_size: 1
    .uses_dynamic_stack: false
    .vgpr_count:     40
    .vgpr_spill_count: 0
    .wavefront_size: 32
    .workgroup_processor_mode: 1
  - .args:
      - .offset:         0
        .size:           4
        .value_kind:     by_value
      - .offset:         4
        .size:           4
        .value_kind:     by_value
      - .actual_access:  read_only
        .address_space:  global
        .offset:         8
        .size:           8
        .value_kind:     global_buffer
      - .actual_access:  read_only
        .address_space:  global
        .offset:         16
        .size:           8
        .value_kind:     global_buffer
      - .actual_access:  read_only
        .address_space:  global
        .offset:         24
        .size:           8
        .value_kind:     global_buffer
      - .offset:         32
        .size:           4
        .value_kind:     by_value
      - .actual_access:  read_only
        .address_space:  global
        .offset:         40
        .size:           8
        .value_kind:     global_buffer
      - .actual_access:  read_only
        .address_space:  global
        .offset:         48
        .size:           8
        .value_kind:     global_buffer
      - .actual_access:  read_only
        .address_space:  global
        .offset:         56
        .size:           8
        .value_kind:     global_buffer
      - .actual_access:  read_only
        .address_space:  global
        .offset:         64
        .size:           8
        .value_kind:     global_buffer
      - .actual_access:  read_only
        .address_space:  global
        .offset:         72
        .size:           8
        .value_kind:     global_buffer
      - .actual_access:  read_only
        .address_space:  global
        .offset:         80
        .size:           8
        .value_kind:     global_buffer
      - .actual_access:  read_only
        .address_space:  global
        .offset:         88
        .size:           8
        .value_kind:     global_buffer
      - .address_space:  global
        .offset:         96
        .size:           8
        .value_kind:     global_buffer
      - .address_space:  global
        .offset:         104
        .size:           8
        .value_kind:     global_buffer
      - .address_space:  global
        .offset:         112
        .size:           8
        .value_kind:     global_buffer
    .group_segment_fixed_size: 128
    .kernarg_segment_align: 8
    .kernarg_segment_size: 120
    .language:       OpenCL C
    .language_version:
      - 2
      - 0
    .max_flat_workgroup_size: 1024
    .name:           _ZN9rocsparseL20kernel_calculate_cooILi1024ELi64ELb1E21rocsparse_complex_numIdEiiEEvT4_T3_PKS3_S6_PKT2_21rocsparse_index_base_PKS4_SC_S6_SC_SC_S6_SC_PS7_PNS_15floating_traitsIS7_E6data_tEPKSG_
    .private_segment_fixed_size: 0
    .sgpr_count:     39
    .sgpr_spill_count: 0
    .symbol:         _ZN9rocsparseL20kernel_calculate_cooILi1024ELi64ELb1E21rocsparse_complex_numIdEiiEEvT4_T3_PKS3_S6_PKT2_21rocsparse_index_base_PKS4_SC_S6_SC_SC_S6_SC_PS7_PNS_15floating_traitsIS7_E6data_tEPKSG_.kd
    .uniform_work_group_size: 1
    .uses_dynamic_stack: false
    .vgpr_count:     40
    .vgpr_spill_count: 0
    .wavefront_size: 32
    .workgroup_processor_mode: 1
  - .args:
      - .offset:         0
        .size:           4
        .value_kind:     by_value
      - .offset:         4
        .size:           4
        .value_kind:     by_value
      - .actual_access:  read_only
        .address_space:  global
        .offset:         8
        .size:           8
        .value_kind:     global_buffer
      - .actual_access:  read_only
        .address_space:  global
        .offset:         16
        .size:           8
        .value_kind:     global_buffer
      - .actual_access:  read_only
        .address_space:  global
        .offset:         24
        .size:           8
        .value_kind:     global_buffer
      - .actual_access:  read_only
        .address_space:  global
        .offset:         32
        .size:           8
        .value_kind:     global_buffer
      - .offset:         40
        .size:           4
        .value_kind:     by_value
      - .actual_access:  read_only
        .address_space:  global
        .offset:         48
        .size:           8
        .value_kind:     global_buffer
      - .actual_access:  read_only
        .address_space:  global
        .offset:         56
        .size:           8
        .value_kind:     global_buffer
      - .actual_access:  read_only
        .address_space:  global
        .offset:         64
        .size:           8
        .value_kind:     global_buffer
      - .actual_access:  read_only
        .address_space:  global
        .offset:         72
        .size:           8
        .value_kind:     global_buffer
      - .actual_access:  read_only
        .address_space:  global
        .offset:         80
        .size:           8
        .value_kind:     global_buffer
      - .actual_access:  read_only
        .address_space:  global
        .offset:         88
        .size:           8
        .value_kind:     global_buffer
      - .actual_access:  read_only
        .address_space:  global
        .offset:         96
        .size:           8
        .value_kind:     global_buffer
      - .address_space:  global
        .offset:         104
        .size:           8
        .value_kind:     global_buffer
      - .address_space:  global
        .offset:         112
        .size:           8
        .value_kind:     global_buffer
      - .address_space:  global
        .offset:         120
        .size:           8
        .value_kind:     global_buffer
    .group_segment_fixed_size: 8192
    .kernarg_segment_align: 8
    .kernarg_segment_size: 128
    .language:       OpenCL C
    .language_version:
      - 2
      - 0
    .max_flat_workgroup_size: 1024
    .name:           _ZN9rocsparseL16kernel_calculateILi1024ELi1ELb1E21rocsparse_complex_numIdEiiEEvT4_T3_PKS4_S6_PKS3_PKT2_21rocsparse_index_base_S6_S6_S8_S6_S6_S8_S6_PS9_PNS_15floating_traitsIS9_E6data_tEPKSG_
    .private_segment_fixed_size: 0
    .sgpr_count:     34
    .sgpr_spill_count: 0
    .symbol:         _ZN9rocsparseL16kernel_calculateILi1024ELi1ELb1E21rocsparse_complex_numIdEiiEEvT4_T3_PKS4_S6_PKS3_PKT2_21rocsparse_index_base_S6_S6_S8_S6_S6_S8_S6_PS9_PNS_15floating_traitsIS9_E6data_tEPKSG_.kd
    .uniform_work_group_size: 1
    .uses_dynamic_stack: false
    .vgpr_count:     45
    .vgpr_spill_count: 0
    .wavefront_size: 32
    .workgroup_processor_mode: 1
  - .args:
      - .offset:         0
        .size:           4
        .value_kind:     by_value
      - .offset:         4
        .size:           4
        .value_kind:     by_value
      - .actual_access:  read_only
        .address_space:  global
        .offset:         8
        .size:           8
        .value_kind:     global_buffer
      - .actual_access:  read_only
        .address_space:  global
        .offset:         16
        .size:           8
        .value_kind:     global_buffer
      - .actual_access:  read_only
        .address_space:  global
        .offset:         24
        .size:           8
        .value_kind:     global_buffer
      - .actual_access:  read_only
        .address_space:  global
        .offset:         32
        .size:           8
        .value_kind:     global_buffer
      - .offset:         40
        .size:           4
        .value_kind:     by_value
      - .actual_access:  read_only
        .address_space:  global
        .offset:         48
        .size:           8
        .value_kind:     global_buffer
      - .actual_access:  read_only
        .address_space:  global
        .offset:         56
        .size:           8
        .value_kind:     global_buffer
      - .actual_access:  read_only
        .address_space:  global
        .offset:         64
        .size:           8
        .value_kind:     global_buffer
      - .actual_access:  read_only
        .address_space:  global
        .offset:         72
        .size:           8
        .value_kind:     global_buffer
      - .actual_access:  read_only
        .address_space:  global
        .offset:         80
        .size:           8
        .value_kind:     global_buffer
      - .actual_access:  read_only
        .address_space:  global
        .offset:         88
        .size:           8
        .value_kind:     global_buffer
      - .actual_access:  read_only
        .address_space:  global
        .offset:         96
        .size:           8
        .value_kind:     global_buffer
      - .address_space:  global
        .offset:         104
        .size:           8
        .value_kind:     global_buffer
      - .address_space:  global
        .offset:         112
        .size:           8
        .value_kind:     global_buffer
      - .address_space:  global
        .offset:         120
        .size:           8
        .value_kind:     global_buffer
    .group_segment_fixed_size: 4096
    .kernarg_segment_align: 8
    .kernarg_segment_size: 128
    .language:       OpenCL C
    .language_version:
      - 2
      - 0
    .max_flat_workgroup_size: 1024
    .name:           _ZN9rocsparseL16kernel_calculateILi1024ELi2ELb1E21rocsparse_complex_numIdEiiEEvT4_T3_PKS4_S6_PKS3_PKT2_21rocsparse_index_base_S6_S6_S8_S6_S6_S8_S6_PS9_PNS_15floating_traitsIS9_E6data_tEPKSG_
    .private_segment_fixed_size: 0
    .sgpr_count:     44
    .sgpr_spill_count: 0
    .symbol:         _ZN9rocsparseL16kernel_calculateILi1024ELi2ELb1E21rocsparse_complex_numIdEiiEEvT4_T3_PKS4_S6_PKS3_PKT2_21rocsparse_index_base_S6_S6_S8_S6_S6_S8_S6_PS9_PNS_15floating_traitsIS9_E6data_tEPKSG_.kd
    .uniform_work_group_size: 1
    .uses_dynamic_stack: false
    .vgpr_count:     47
    .vgpr_spill_count: 0
    .wavefront_size: 32
    .workgroup_processor_mode: 1
  - .args:
      - .offset:         0
        .size:           4
        .value_kind:     by_value
      - .offset:         4
        .size:           4
        .value_kind:     by_value
      - .actual_access:  read_only
        .address_space:  global
        .offset:         8
        .size:           8
        .value_kind:     global_buffer
      - .actual_access:  read_only
        .address_space:  global
        .offset:         16
        .size:           8
        .value_kind:     global_buffer
      - .actual_access:  read_only
        .address_space:  global
        .offset:         24
        .size:           8
        .value_kind:     global_buffer
      - .actual_access:  read_only
        .address_space:  global
        .offset:         32
        .size:           8
        .value_kind:     global_buffer
      - .offset:         40
        .size:           4
        .value_kind:     by_value
      - .actual_access:  read_only
        .address_space:  global
        .offset:         48
        .size:           8
        .value_kind:     global_buffer
      - .actual_access:  read_only
        .address_space:  global
        .offset:         56
        .size:           8
        .value_kind:     global_buffer
      - .actual_access:  read_only
        .address_space:  global
        .offset:         64
        .size:           8
        .value_kind:     global_buffer
      - .actual_access:  read_only
        .address_space:  global
        .offset:         72
        .size:           8
        .value_kind:     global_buffer
      - .actual_access:  read_only
        .address_space:  global
        .offset:         80
        .size:           8
        .value_kind:     global_buffer
      - .actual_access:  read_only
        .address_space:  global
        .offset:         88
        .size:           8
        .value_kind:     global_buffer
      - .actual_access:  read_only
        .address_space:  global
        .offset:         96
        .size:           8
        .value_kind:     global_buffer
      - .address_space:  global
        .offset:         104
        .size:           8
        .value_kind:     global_buffer
      - .address_space:  global
        .offset:         112
        .size:           8
        .value_kind:     global_buffer
      - .address_space:  global
        .offset:         120
        .size:           8
        .value_kind:     global_buffer
    .group_segment_fixed_size: 2048
    .kernarg_segment_align: 8
    .kernarg_segment_size: 128
    .language:       OpenCL C
    .language_version:
      - 2
      - 0
    .max_flat_workgroup_size: 1024
    .name:           _ZN9rocsparseL16kernel_calculateILi1024ELi4ELb1E21rocsparse_complex_numIdEiiEEvT4_T3_PKS4_S6_PKS3_PKT2_21rocsparse_index_base_S6_S6_S8_S6_S6_S8_S6_PS9_PNS_15floating_traitsIS9_E6data_tEPKSG_
    .private_segment_fixed_size: 0
    .sgpr_count:     44
    .sgpr_spill_count: 0
    .symbol:         _ZN9rocsparseL16kernel_calculateILi1024ELi4ELb1E21rocsparse_complex_numIdEiiEEvT4_T3_PKS4_S6_PKS3_PKT2_21rocsparse_index_base_S6_S6_S8_S6_S6_S8_S6_PS9_PNS_15floating_traitsIS9_E6data_tEPKSG_.kd
    .uniform_work_group_size: 1
    .uses_dynamic_stack: false
    .vgpr_count:     47
    .vgpr_spill_count: 0
    .wavefront_size: 32
    .workgroup_processor_mode: 1
  - .args:
      - .offset:         0
        .size:           4
        .value_kind:     by_value
      - .offset:         4
        .size:           4
        .value_kind:     by_value
      - .actual_access:  read_only
        .address_space:  global
        .offset:         8
        .size:           8
        .value_kind:     global_buffer
      - .actual_access:  read_only
        .address_space:  global
        .offset:         16
        .size:           8
        .value_kind:     global_buffer
      - .actual_access:  read_only
        .address_space:  global
        .offset:         24
        .size:           8
        .value_kind:     global_buffer
      - .actual_access:  read_only
        .address_space:  global
        .offset:         32
        .size:           8
        .value_kind:     global_buffer
      - .offset:         40
        .size:           4
        .value_kind:     by_value
      - .actual_access:  read_only
        .address_space:  global
        .offset:         48
        .size:           8
        .value_kind:     global_buffer
      - .actual_access:  read_only
        .address_space:  global
        .offset:         56
        .size:           8
        .value_kind:     global_buffer
      - .actual_access:  read_only
        .address_space:  global
        .offset:         64
        .size:           8
        .value_kind:     global_buffer
      - .actual_access:  read_only
        .address_space:  global
        .offset:         72
        .size:           8
        .value_kind:     global_buffer
      - .actual_access:  read_only
        .address_space:  global
        .offset:         80
        .size:           8
        .value_kind:     global_buffer
      - .actual_access:  read_only
        .address_space:  global
        .offset:         88
        .size:           8
        .value_kind:     global_buffer
      - .actual_access:  read_only
        .address_space:  global
        .offset:         96
        .size:           8
        .value_kind:     global_buffer
      - .address_space:  global
        .offset:         104
        .size:           8
        .value_kind:     global_buffer
      - .address_space:  global
        .offset:         112
        .size:           8
        .value_kind:     global_buffer
      - .address_space:  global
        .offset:         120
        .size:           8
        .value_kind:     global_buffer
    .group_segment_fixed_size: 1024
    .kernarg_segment_align: 8
    .kernarg_segment_size: 128
    .language:       OpenCL C
    .language_version:
      - 2
      - 0
    .max_flat_workgroup_size: 1024
    .name:           _ZN9rocsparseL16kernel_calculateILi1024ELi8ELb1E21rocsparse_complex_numIdEiiEEvT4_T3_PKS4_S6_PKS3_PKT2_21rocsparse_index_base_S6_S6_S8_S6_S6_S8_S6_PS9_PNS_15floating_traitsIS9_E6data_tEPKSG_
    .private_segment_fixed_size: 0
    .sgpr_count:     44
    .sgpr_spill_count: 0
    .symbol:         _ZN9rocsparseL16kernel_calculateILi1024ELi8ELb1E21rocsparse_complex_numIdEiiEEvT4_T3_PKS4_S6_PKS3_PKT2_21rocsparse_index_base_S6_S6_S8_S6_S6_S8_S6_PS9_PNS_15floating_traitsIS9_E6data_tEPKSG_.kd
    .uniform_work_group_size: 1
    .uses_dynamic_stack: false
    .vgpr_count:     47
    .vgpr_spill_count: 0
    .wavefront_size: 32
    .workgroup_processor_mode: 1
  - .args:
      - .offset:         0
        .size:           4
        .value_kind:     by_value
      - .offset:         4
        .size:           4
        .value_kind:     by_value
      - .actual_access:  read_only
        .address_space:  global
        .offset:         8
        .size:           8
        .value_kind:     global_buffer
      - .actual_access:  read_only
        .address_space:  global
        .offset:         16
        .size:           8
        .value_kind:     global_buffer
      - .actual_access:  read_only
        .address_space:  global
        .offset:         24
        .size:           8
        .value_kind:     global_buffer
      - .actual_access:  read_only
        .address_space:  global
        .offset:         32
        .size:           8
        .value_kind:     global_buffer
      - .offset:         40
        .size:           4
        .value_kind:     by_value
      - .actual_access:  read_only
        .address_space:  global
        .offset:         48
        .size:           8
        .value_kind:     global_buffer
      - .actual_access:  read_only
        .address_space:  global
        .offset:         56
        .size:           8
        .value_kind:     global_buffer
      - .actual_access:  read_only
        .address_space:  global
        .offset:         64
        .size:           8
        .value_kind:     global_buffer
      - .actual_access:  read_only
        .address_space:  global
        .offset:         72
        .size:           8
        .value_kind:     global_buffer
      - .actual_access:  read_only
        .address_space:  global
        .offset:         80
        .size:           8
        .value_kind:     global_buffer
      - .actual_access:  read_only
        .address_space:  global
        .offset:         88
        .size:           8
        .value_kind:     global_buffer
      - .actual_access:  read_only
        .address_space:  global
        .offset:         96
        .size:           8
        .value_kind:     global_buffer
      - .address_space:  global
        .offset:         104
        .size:           8
        .value_kind:     global_buffer
      - .address_space:  global
        .offset:         112
        .size:           8
        .value_kind:     global_buffer
      - .address_space:  global
        .offset:         120
        .size:           8
        .value_kind:     global_buffer
    .group_segment_fixed_size: 512
    .kernarg_segment_align: 8
    .kernarg_segment_size: 128
    .language:       OpenCL C
    .language_version:
      - 2
      - 0
    .max_flat_workgroup_size: 1024
    .name:           _ZN9rocsparseL16kernel_calculateILi1024ELi16ELb1E21rocsparse_complex_numIdEiiEEvT4_T3_PKS4_S6_PKS3_PKT2_21rocsparse_index_base_S6_S6_S8_S6_S6_S8_S6_PS9_PNS_15floating_traitsIS9_E6data_tEPKSG_
    .private_segment_fixed_size: 0
    .sgpr_count:     44
    .sgpr_spill_count: 0
    .symbol:         _ZN9rocsparseL16kernel_calculateILi1024ELi16ELb1E21rocsparse_complex_numIdEiiEEvT4_T3_PKS4_S6_PKS3_PKT2_21rocsparse_index_base_S6_S6_S8_S6_S6_S8_S6_PS9_PNS_15floating_traitsIS9_E6data_tEPKSG_.kd
    .uniform_work_group_size: 1
    .uses_dynamic_stack: false
    .vgpr_count:     47
    .vgpr_spill_count: 0
    .wavefront_size: 32
    .workgroup_processor_mode: 1
  - .args:
      - .offset:         0
        .size:           4
        .value_kind:     by_value
      - .offset:         4
        .size:           4
        .value_kind:     by_value
      - .actual_access:  read_only
        .address_space:  global
        .offset:         8
        .size:           8
        .value_kind:     global_buffer
      - .actual_access:  read_only
        .address_space:  global
        .offset:         16
        .size:           8
        .value_kind:     global_buffer
      - .actual_access:  read_only
        .address_space:  global
        .offset:         24
        .size:           8
        .value_kind:     global_buffer
      - .actual_access:  read_only
        .address_space:  global
        .offset:         32
        .size:           8
        .value_kind:     global_buffer
      - .offset:         40
        .size:           4
        .value_kind:     by_value
      - .actual_access:  read_only
        .address_space:  global
        .offset:         48
        .size:           8
        .value_kind:     global_buffer
      - .actual_access:  read_only
        .address_space:  global
        .offset:         56
        .size:           8
        .value_kind:     global_buffer
      - .actual_access:  read_only
        .address_space:  global
        .offset:         64
        .size:           8
        .value_kind:     global_buffer
      - .actual_access:  read_only
        .address_space:  global
        .offset:         72
        .size:           8
        .value_kind:     global_buffer
      - .actual_access:  read_only
        .address_space:  global
        .offset:         80
        .size:           8
        .value_kind:     global_buffer
      - .actual_access:  read_only
        .address_space:  global
        .offset:         88
        .size:           8
        .value_kind:     global_buffer
      - .actual_access:  read_only
        .address_space:  global
        .offset:         96
        .size:           8
        .value_kind:     global_buffer
      - .address_space:  global
        .offset:         104
        .size:           8
        .value_kind:     global_buffer
      - .address_space:  global
        .offset:         112
        .size:           8
        .value_kind:     global_buffer
      - .address_space:  global
        .offset:         120
        .size:           8
        .value_kind:     global_buffer
    .group_segment_fixed_size: 256
    .kernarg_segment_align: 8
    .kernarg_segment_size: 128
    .language:       OpenCL C
    .language_version:
      - 2
      - 0
    .max_flat_workgroup_size: 1024
    .name:           _ZN9rocsparseL16kernel_calculateILi1024ELi32ELb1E21rocsparse_complex_numIdEiiEEvT4_T3_PKS4_S6_PKS3_PKT2_21rocsparse_index_base_S6_S6_S8_S6_S6_S8_S6_PS9_PNS_15floating_traitsIS9_E6data_tEPKSG_
    .private_segment_fixed_size: 0
    .sgpr_count:     44
    .sgpr_spill_count: 0
    .symbol:         _ZN9rocsparseL16kernel_calculateILi1024ELi32ELb1E21rocsparse_complex_numIdEiiEEvT4_T3_PKS4_S6_PKS3_PKT2_21rocsparse_index_base_S6_S6_S8_S6_S6_S8_S6_PS9_PNS_15floating_traitsIS9_E6data_tEPKSG_.kd
    .uniform_work_group_size: 1
    .uses_dynamic_stack: false
    .vgpr_count:     47
    .vgpr_spill_count: 0
    .wavefront_size: 32
    .workgroup_processor_mode: 1
  - .args:
      - .offset:         0
        .size:           4
        .value_kind:     by_value
      - .offset:         4
        .size:           4
        .value_kind:     by_value
      - .actual_access:  read_only
        .address_space:  global
        .offset:         8
        .size:           8
        .value_kind:     global_buffer
      - .actual_access:  read_only
        .address_space:  global
        .offset:         16
        .size:           8
        .value_kind:     global_buffer
      - .actual_access:  read_only
        .address_space:  global
        .offset:         24
        .size:           8
        .value_kind:     global_buffer
      - .actual_access:  read_only
        .address_space:  global
        .offset:         32
        .size:           8
        .value_kind:     global_buffer
      - .offset:         40
        .size:           4
        .value_kind:     by_value
      - .actual_access:  read_only
        .address_space:  global
        .offset:         48
        .size:           8
        .value_kind:     global_buffer
      - .actual_access:  read_only
        .address_space:  global
        .offset:         56
        .size:           8
        .value_kind:     global_buffer
      - .actual_access:  read_only
        .address_space:  global
        .offset:         64
        .size:           8
        .value_kind:     global_buffer
      - .actual_access:  read_only
        .address_space:  global
        .offset:         72
        .size:           8
        .value_kind:     global_buffer
      - .actual_access:  read_only
        .address_space:  global
        .offset:         80
        .size:           8
        .value_kind:     global_buffer
      - .actual_access:  read_only
        .address_space:  global
        .offset:         88
        .size:           8
        .value_kind:     global_buffer
      - .actual_access:  read_only
        .address_space:  global
        .offset:         96
        .size:           8
        .value_kind:     global_buffer
      - .address_space:  global
        .offset:         104
        .size:           8
        .value_kind:     global_buffer
      - .address_space:  global
        .offset:         112
        .size:           8
        .value_kind:     global_buffer
      - .address_space:  global
        .offset:         120
        .size:           8
        .value_kind:     global_buffer
    .group_segment_fixed_size: 128
    .kernarg_segment_align: 8
    .kernarg_segment_size: 128
    .language:       OpenCL C
    .language_version:
      - 2
      - 0
    .max_flat_workgroup_size: 1024
    .name:           _ZN9rocsparseL16kernel_calculateILi1024ELi64ELb1E21rocsparse_complex_numIdEiiEEvT4_T3_PKS4_S6_PKS3_PKT2_21rocsparse_index_base_S6_S6_S8_S6_S6_S8_S6_PS9_PNS_15floating_traitsIS9_E6data_tEPKSG_
    .private_segment_fixed_size: 0
    .sgpr_count:     44
    .sgpr_spill_count: 0
    .symbol:         _ZN9rocsparseL16kernel_calculateILi1024ELi64ELb1E21rocsparse_complex_numIdEiiEEvT4_T3_PKS4_S6_PKS3_PKT2_21rocsparse_index_base_S6_S6_S8_S6_S6_S8_S6_PS9_PNS_15floating_traitsIS9_E6data_tEPKSG_.kd
    .uniform_work_group_size: 1
    .uses_dynamic_stack: false
    .vgpr_count:     47
    .vgpr_spill_count: 0
    .wavefront_size: 32
    .workgroup_processor_mode: 1
  - .args:
      - .offset:         0
        .size:           4
        .value_kind:     by_value
      - .offset:         4
        .size:           4
        .value_kind:     by_value
      - .actual_access:  read_only
        .address_space:  global
        .offset:         8
        .size:           8
        .value_kind:     global_buffer
      - .actual_access:  read_only
        .address_space:  global
        .offset:         16
        .size:           8
        .value_kind:     global_buffer
      - .actual_access:  read_only
        .address_space:  global
        .offset:         24
        .size:           8
        .value_kind:     global_buffer
      - .actual_access:  read_only
        .address_space:  global
        .offset:         32
        .size:           8
        .value_kind:     global_buffer
      - .offset:         40
        .size:           4
        .value_kind:     by_value
      - .actual_access:  read_only
        .address_space:  global
        .offset:         48
        .size:           8
        .value_kind:     global_buffer
      - .actual_access:  read_only
        .address_space:  global
        .offset:         56
        .size:           8
        .value_kind:     global_buffer
      - .actual_access:  read_only
        .address_space:  global
        .offset:         64
        .size:           8
        .value_kind:     global_buffer
      - .actual_access:  read_only
        .address_space:  global
        .offset:         72
        .size:           8
        .value_kind:     global_buffer
      - .actual_access:  read_only
        .address_space:  global
        .offset:         80
        .size:           8
        .value_kind:     global_buffer
      - .actual_access:  read_only
        .address_space:  global
        .offset:         88
        .size:           8
        .value_kind:     global_buffer
      - .actual_access:  read_only
        .address_space:  global
        .offset:         96
        .size:           8
        .value_kind:     global_buffer
      - .address_space:  global
        .offset:         104
        .size:           8
        .value_kind:     global_buffer
      - .address_space:  global
        .offset:         112
        .size:           8
        .value_kind:     global_buffer
      - .address_space:  global
        .offset:         120
        .size:           8
        .value_kind:     global_buffer
    .group_segment_fixed_size: 0
    .kernarg_segment_align: 8
    .kernarg_segment_size: 128
    .language:       OpenCL C
    .language_version:
      - 2
      - 0
    .max_flat_workgroup_size: 1024
    .name:           _ZN9rocsparseL16kernel_calculateILi1024ELi1ELb0E21rocsparse_complex_numIdEiiEEvT4_T3_PKS4_S6_PKS3_PKT2_21rocsparse_index_base_S6_S6_S8_S6_S6_S8_S6_PS9_PNS_15floating_traitsIS9_E6data_tEPKSG_
    .private_segment_fixed_size: 0
    .sgpr_count:     26
    .sgpr_spill_count: 0
    .symbol:         _ZN9rocsparseL16kernel_calculateILi1024ELi1ELb0E21rocsparse_complex_numIdEiiEEvT4_T3_PKS4_S6_PKS3_PKT2_21rocsparse_index_base_S6_S6_S8_S6_S6_S8_S6_PS9_PNS_15floating_traitsIS9_E6data_tEPKSG_.kd
    .uniform_work_group_size: 1
    .uses_dynamic_stack: false
    .vgpr_count:     36
    .vgpr_spill_count: 0
    .wavefront_size: 32
    .workgroup_processor_mode: 1
  - .args:
      - .offset:         0
        .size:           4
        .value_kind:     by_value
      - .offset:         4
        .size:           4
        .value_kind:     by_value
      - .actual_access:  read_only
        .address_space:  global
        .offset:         8
        .size:           8
        .value_kind:     global_buffer
      - .actual_access:  read_only
        .address_space:  global
        .offset:         16
        .size:           8
        .value_kind:     global_buffer
      - .actual_access:  read_only
        .address_space:  global
        .offset:         24
        .size:           8
        .value_kind:     global_buffer
      - .actual_access:  read_only
        .address_space:  global
        .offset:         32
        .size:           8
        .value_kind:     global_buffer
      - .offset:         40
        .size:           4
        .value_kind:     by_value
      - .actual_access:  read_only
        .address_space:  global
        .offset:         48
        .size:           8
        .value_kind:     global_buffer
      - .actual_access:  read_only
        .address_space:  global
        .offset:         56
        .size:           8
        .value_kind:     global_buffer
      - .actual_access:  read_only
        .address_space:  global
        .offset:         64
        .size:           8
        .value_kind:     global_buffer
      - .actual_access:  read_only
        .address_space:  global
        .offset:         72
        .size:           8
        .value_kind:     global_buffer
      - .actual_access:  read_only
        .address_space:  global
        .offset:         80
        .size:           8
        .value_kind:     global_buffer
      - .actual_access:  read_only
        .address_space:  global
        .offset:         88
        .size:           8
        .value_kind:     global_buffer
      - .actual_access:  read_only
        .address_space:  global
        .offset:         96
        .size:           8
        .value_kind:     global_buffer
      - .address_space:  global
        .offset:         104
        .size:           8
        .value_kind:     global_buffer
      - .address_space:  global
        .offset:         112
        .size:           8
        .value_kind:     global_buffer
      - .address_space:  global
        .offset:         120
        .size:           8
        .value_kind:     global_buffer
    .group_segment_fixed_size: 0
    .kernarg_segment_align: 8
    .kernarg_segment_size: 128
    .language:       OpenCL C
    .language_version:
      - 2
      - 0
    .max_flat_workgroup_size: 1024
    .name:           _ZN9rocsparseL16kernel_calculateILi1024ELi2ELb0E21rocsparse_complex_numIdEiiEEvT4_T3_PKS4_S6_PKS3_PKT2_21rocsparse_index_base_S6_S6_S8_S6_S6_S8_S6_PS9_PNS_15floating_traitsIS9_E6data_tEPKSG_
    .private_segment_fixed_size: 0
    .sgpr_count:     30
    .sgpr_spill_count: 0
    .symbol:         _ZN9rocsparseL16kernel_calculateILi1024ELi2ELb0E21rocsparse_complex_numIdEiiEEvT4_T3_PKS4_S6_PKS3_PKT2_21rocsparse_index_base_S6_S6_S8_S6_S6_S8_S6_PS9_PNS_15floating_traitsIS9_E6data_tEPKSG_.kd
    .uniform_work_group_size: 1
    .uses_dynamic_stack: false
    .vgpr_count:     43
    .vgpr_spill_count: 0
    .wavefront_size: 32
    .workgroup_processor_mode: 1
  - .args:
      - .offset:         0
        .size:           4
        .value_kind:     by_value
      - .offset:         4
        .size:           4
        .value_kind:     by_value
      - .actual_access:  read_only
        .address_space:  global
        .offset:         8
        .size:           8
        .value_kind:     global_buffer
      - .actual_access:  read_only
        .address_space:  global
        .offset:         16
        .size:           8
        .value_kind:     global_buffer
      - .actual_access:  read_only
        .address_space:  global
        .offset:         24
        .size:           8
        .value_kind:     global_buffer
      - .actual_access:  read_only
        .address_space:  global
        .offset:         32
        .size:           8
        .value_kind:     global_buffer
      - .offset:         40
        .size:           4
        .value_kind:     by_value
      - .actual_access:  read_only
        .address_space:  global
        .offset:         48
        .size:           8
        .value_kind:     global_buffer
      - .actual_access:  read_only
        .address_space:  global
        .offset:         56
        .size:           8
        .value_kind:     global_buffer
      - .actual_access:  read_only
        .address_space:  global
        .offset:         64
        .size:           8
        .value_kind:     global_buffer
      - .actual_access:  read_only
        .address_space:  global
        .offset:         72
        .size:           8
        .value_kind:     global_buffer
      - .actual_access:  read_only
        .address_space:  global
        .offset:         80
        .size:           8
        .value_kind:     global_buffer
      - .actual_access:  read_only
        .address_space:  global
        .offset:         88
        .size:           8
        .value_kind:     global_buffer
      - .actual_access:  read_only
        .address_space:  global
        .offset:         96
        .size:           8
        .value_kind:     global_buffer
      - .address_space:  global
        .offset:         104
        .size:           8
        .value_kind:     global_buffer
      - .address_space:  global
        .offset:         112
        .size:           8
        .value_kind:     global_buffer
      - .address_space:  global
        .offset:         120
        .size:           8
        .value_kind:     global_buffer
    .group_segment_fixed_size: 0
    .kernarg_segment_align: 8
    .kernarg_segment_size: 128
    .language:       OpenCL C
    .language_version:
      - 2
      - 0
    .max_flat_workgroup_size: 1024
    .name:           _ZN9rocsparseL16kernel_calculateILi1024ELi4ELb0E21rocsparse_complex_numIdEiiEEvT4_T3_PKS4_S6_PKS3_PKT2_21rocsparse_index_base_S6_S6_S8_S6_S6_S8_S6_PS9_PNS_15floating_traitsIS9_E6data_tEPKSG_
    .private_segment_fixed_size: 0
    .sgpr_count:     36
    .sgpr_spill_count: 0
    .symbol:         _ZN9rocsparseL16kernel_calculateILi1024ELi4ELb0E21rocsparse_complex_numIdEiiEEvT4_T3_PKS4_S6_PKS3_PKT2_21rocsparse_index_base_S6_S6_S8_S6_S6_S8_S6_PS9_PNS_15floating_traitsIS9_E6data_tEPKSG_.kd
    .uniform_work_group_size: 1
    .uses_dynamic_stack: false
    .vgpr_count:     38
    .vgpr_spill_count: 0
    .wavefront_size: 32
    .workgroup_processor_mode: 1
  - .args:
      - .offset:         0
        .size:           4
        .value_kind:     by_value
      - .offset:         4
        .size:           4
        .value_kind:     by_value
      - .actual_access:  read_only
        .address_space:  global
        .offset:         8
        .size:           8
        .value_kind:     global_buffer
      - .actual_access:  read_only
        .address_space:  global
        .offset:         16
        .size:           8
        .value_kind:     global_buffer
      - .actual_access:  read_only
        .address_space:  global
        .offset:         24
        .size:           8
        .value_kind:     global_buffer
      - .actual_access:  read_only
        .address_space:  global
        .offset:         32
        .size:           8
        .value_kind:     global_buffer
      - .offset:         40
        .size:           4
        .value_kind:     by_value
      - .actual_access:  read_only
        .address_space:  global
        .offset:         48
        .size:           8
        .value_kind:     global_buffer
      - .actual_access:  read_only
        .address_space:  global
        .offset:         56
        .size:           8
        .value_kind:     global_buffer
      - .actual_access:  read_only
        .address_space:  global
        .offset:         64
        .size:           8
        .value_kind:     global_buffer
      - .actual_access:  read_only
        .address_space:  global
        .offset:         72
        .size:           8
        .value_kind:     global_buffer
      - .actual_access:  read_only
        .address_space:  global
        .offset:         80
        .size:           8
        .value_kind:     global_buffer
      - .actual_access:  read_only
        .address_space:  global
        .offset:         88
        .size:           8
        .value_kind:     global_buffer
      - .actual_access:  read_only
        .address_space:  global
        .offset:         96
        .size:           8
        .value_kind:     global_buffer
      - .address_space:  global
        .offset:         104
        .size:           8
        .value_kind:     global_buffer
      - .address_space:  global
        .offset:         112
        .size:           8
        .value_kind:     global_buffer
      - .address_space:  global
        .offset:         120
        .size:           8
        .value_kind:     global_buffer
    .group_segment_fixed_size: 0
    .kernarg_segment_align: 8
    .kernarg_segment_size: 128
    .language:       OpenCL C
    .language_version:
      - 2
      - 0
    .max_flat_workgroup_size: 1024
    .name:           _ZN9rocsparseL16kernel_calculateILi1024ELi8ELb0E21rocsparse_complex_numIdEiiEEvT4_T3_PKS4_S6_PKS3_PKT2_21rocsparse_index_base_S6_S6_S8_S6_S6_S8_S6_PS9_PNS_15floating_traitsIS9_E6data_tEPKSG_
    .private_segment_fixed_size: 0
    .sgpr_count:     36
    .sgpr_spill_count: 0
    .symbol:         _ZN9rocsparseL16kernel_calculateILi1024ELi8ELb0E21rocsparse_complex_numIdEiiEEvT4_T3_PKS4_S6_PKS3_PKT2_21rocsparse_index_base_S6_S6_S8_S6_S6_S8_S6_PS9_PNS_15floating_traitsIS9_E6data_tEPKSG_.kd
    .uniform_work_group_size: 1
    .uses_dynamic_stack: false
    .vgpr_count:     38
    .vgpr_spill_count: 0
    .wavefront_size: 32
    .workgroup_processor_mode: 1
  - .args:
      - .offset:         0
        .size:           4
        .value_kind:     by_value
      - .offset:         4
        .size:           4
        .value_kind:     by_value
      - .actual_access:  read_only
        .address_space:  global
        .offset:         8
        .size:           8
        .value_kind:     global_buffer
      - .actual_access:  read_only
        .address_space:  global
        .offset:         16
        .size:           8
        .value_kind:     global_buffer
      - .actual_access:  read_only
        .address_space:  global
        .offset:         24
        .size:           8
        .value_kind:     global_buffer
      - .actual_access:  read_only
        .address_space:  global
        .offset:         32
        .size:           8
        .value_kind:     global_buffer
      - .offset:         40
        .size:           4
        .value_kind:     by_value
      - .actual_access:  read_only
        .address_space:  global
        .offset:         48
        .size:           8
        .value_kind:     global_buffer
      - .actual_access:  read_only
        .address_space:  global
        .offset:         56
        .size:           8
        .value_kind:     global_buffer
      - .actual_access:  read_only
        .address_space:  global
        .offset:         64
        .size:           8
        .value_kind:     global_buffer
      - .actual_access:  read_only
        .address_space:  global
        .offset:         72
        .size:           8
        .value_kind:     global_buffer
      - .actual_access:  read_only
        .address_space:  global
        .offset:         80
        .size:           8
        .value_kind:     global_buffer
      - .actual_access:  read_only
        .address_space:  global
        .offset:         88
        .size:           8
        .value_kind:     global_buffer
      - .actual_access:  read_only
        .address_space:  global
        .offset:         96
        .size:           8
        .value_kind:     global_buffer
      - .address_space:  global
        .offset:         104
        .size:           8
        .value_kind:     global_buffer
      - .address_space:  global
        .offset:         112
        .size:           8
        .value_kind:     global_buffer
      - .address_space:  global
        .offset:         120
        .size:           8
        .value_kind:     global_buffer
    .group_segment_fixed_size: 0
    .kernarg_segment_align: 8
    .kernarg_segment_size: 128
    .language:       OpenCL C
    .language_version:
      - 2
      - 0
    .max_flat_workgroup_size: 1024
    .name:           _ZN9rocsparseL16kernel_calculateILi1024ELi16ELb0E21rocsparse_complex_numIdEiiEEvT4_T3_PKS4_S6_PKS3_PKT2_21rocsparse_index_base_S6_S6_S8_S6_S6_S8_S6_PS9_PNS_15floating_traitsIS9_E6data_tEPKSG_
    .private_segment_fixed_size: 0
    .sgpr_count:     36
    .sgpr_spill_count: 0
    .symbol:         _ZN9rocsparseL16kernel_calculateILi1024ELi16ELb0E21rocsparse_complex_numIdEiiEEvT4_T3_PKS4_S6_PKS3_PKT2_21rocsparse_index_base_S6_S6_S8_S6_S6_S8_S6_PS9_PNS_15floating_traitsIS9_E6data_tEPKSG_.kd
    .uniform_work_group_size: 1
    .uses_dynamic_stack: false
    .vgpr_count:     38
    .vgpr_spill_count: 0
    .wavefront_size: 32
    .workgroup_processor_mode: 1
  - .args:
      - .offset:         0
        .size:           4
        .value_kind:     by_value
      - .offset:         4
        .size:           4
        .value_kind:     by_value
      - .actual_access:  read_only
        .address_space:  global
        .offset:         8
        .size:           8
        .value_kind:     global_buffer
      - .actual_access:  read_only
        .address_space:  global
        .offset:         16
        .size:           8
        .value_kind:     global_buffer
      - .actual_access:  read_only
        .address_space:  global
        .offset:         24
        .size:           8
        .value_kind:     global_buffer
      - .actual_access:  read_only
        .address_space:  global
        .offset:         32
        .size:           8
        .value_kind:     global_buffer
      - .offset:         40
        .size:           4
        .value_kind:     by_value
      - .actual_access:  read_only
        .address_space:  global
        .offset:         48
        .size:           8
        .value_kind:     global_buffer
      - .actual_access:  read_only
        .address_space:  global
        .offset:         56
        .size:           8
        .value_kind:     global_buffer
      - .actual_access:  read_only
        .address_space:  global
        .offset:         64
        .size:           8
        .value_kind:     global_buffer
      - .actual_access:  read_only
        .address_space:  global
        .offset:         72
        .size:           8
        .value_kind:     global_buffer
      - .actual_access:  read_only
        .address_space:  global
        .offset:         80
        .size:           8
        .value_kind:     global_buffer
      - .actual_access:  read_only
        .address_space:  global
        .offset:         88
        .size:           8
        .value_kind:     global_buffer
      - .actual_access:  read_only
        .address_space:  global
        .offset:         96
        .size:           8
        .value_kind:     global_buffer
      - .address_space:  global
        .offset:         104
        .size:           8
        .value_kind:     global_buffer
      - .address_space:  global
        .offset:         112
        .size:           8
        .value_kind:     global_buffer
      - .address_space:  global
        .offset:         120
        .size:           8
        .value_kind:     global_buffer
    .group_segment_fixed_size: 0
    .kernarg_segment_align: 8
    .kernarg_segment_size: 128
    .language:       OpenCL C
    .language_version:
      - 2
      - 0
    .max_flat_workgroup_size: 1024
    .name:           _ZN9rocsparseL16kernel_calculateILi1024ELi32ELb0E21rocsparse_complex_numIdEiiEEvT4_T3_PKS4_S6_PKS3_PKT2_21rocsparse_index_base_S6_S6_S8_S6_S6_S8_S6_PS9_PNS_15floating_traitsIS9_E6data_tEPKSG_
    .private_segment_fixed_size: 0
    .sgpr_count:     36
    .sgpr_spill_count: 0
    .symbol:         _ZN9rocsparseL16kernel_calculateILi1024ELi32ELb0E21rocsparse_complex_numIdEiiEEvT4_T3_PKS4_S6_PKS3_PKT2_21rocsparse_index_base_S6_S6_S8_S6_S6_S8_S6_PS9_PNS_15floating_traitsIS9_E6data_tEPKSG_.kd
    .uniform_work_group_size: 1
    .uses_dynamic_stack: false
    .vgpr_count:     38
    .vgpr_spill_count: 0
    .wavefront_size: 32
    .workgroup_processor_mode: 1
  - .args:
      - .offset:         0
        .size:           4
        .value_kind:     by_value
      - .offset:         4
        .size:           4
        .value_kind:     by_value
      - .actual_access:  read_only
        .address_space:  global
        .offset:         8
        .size:           8
        .value_kind:     global_buffer
      - .actual_access:  read_only
        .address_space:  global
        .offset:         16
        .size:           8
        .value_kind:     global_buffer
      - .actual_access:  read_only
        .address_space:  global
        .offset:         24
        .size:           8
        .value_kind:     global_buffer
      - .actual_access:  read_only
        .address_space:  global
        .offset:         32
        .size:           8
        .value_kind:     global_buffer
      - .offset:         40
        .size:           4
        .value_kind:     by_value
      - .actual_access:  read_only
        .address_space:  global
        .offset:         48
        .size:           8
        .value_kind:     global_buffer
      - .actual_access:  read_only
        .address_space:  global
        .offset:         56
        .size:           8
        .value_kind:     global_buffer
      - .actual_access:  read_only
        .address_space:  global
        .offset:         64
        .size:           8
        .value_kind:     global_buffer
      - .actual_access:  read_only
        .address_space:  global
        .offset:         72
        .size:           8
        .value_kind:     global_buffer
      - .actual_access:  read_only
        .address_space:  global
        .offset:         80
        .size:           8
        .value_kind:     global_buffer
      - .actual_access:  read_only
        .address_space:  global
        .offset:         88
        .size:           8
        .value_kind:     global_buffer
      - .actual_access:  read_only
        .address_space:  global
        .offset:         96
        .size:           8
        .value_kind:     global_buffer
      - .address_space:  global
        .offset:         104
        .size:           8
        .value_kind:     global_buffer
      - .address_space:  global
        .offset:         112
        .size:           8
        .value_kind:     global_buffer
      - .address_space:  global
        .offset:         120
        .size:           8
        .value_kind:     global_buffer
    .group_segment_fixed_size: 0
    .kernarg_segment_align: 8
    .kernarg_segment_size: 128
    .language:       OpenCL C
    .language_version:
      - 2
      - 0
    .max_flat_workgroup_size: 1024
    .name:           _ZN9rocsparseL16kernel_calculateILi1024ELi64ELb0E21rocsparse_complex_numIdEiiEEvT4_T3_PKS4_S6_PKS3_PKT2_21rocsparse_index_base_S6_S6_S8_S6_S6_S8_S6_PS9_PNS_15floating_traitsIS9_E6data_tEPKSG_
    .private_segment_fixed_size: 0
    .sgpr_count:     36
    .sgpr_spill_count: 0
    .symbol:         _ZN9rocsparseL16kernel_calculateILi1024ELi64ELb0E21rocsparse_complex_numIdEiiEEvT4_T3_PKS4_S6_PKS3_PKT2_21rocsparse_index_base_S6_S6_S8_S6_S6_S8_S6_PS9_PNS_15floating_traitsIS9_E6data_tEPKSG_.kd
    .uniform_work_group_size: 1
    .uses_dynamic_stack: false
    .vgpr_count:     38
    .vgpr_spill_count: 0
    .wavefront_size: 32
    .workgroup_processor_mode: 1
  - .args:
      - .offset:         0
        .size:           4
        .value_kind:     by_value
      - .offset:         4
        .size:           4
        .value_kind:     by_value
      - .actual_access:  read_only
        .address_space:  global
        .offset:         8
        .size:           8
        .value_kind:     global_buffer
      - .actual_access:  read_only
        .address_space:  global
        .offset:         16
        .size:           8
        .value_kind:     global_buffer
      - .actual_access:  read_only
        .address_space:  global
        .offset:         24
        .size:           8
        .value_kind:     global_buffer
      - .offset:         32
        .size:           4
        .value_kind:     by_value
      - .actual_access:  read_only
        .address_space:  global
        .offset:         40
        .size:           8
        .value_kind:     global_buffer
      - .actual_access:  read_only
        .address_space:  global
        .offset:         48
        .size:           8
        .value_kind:     global_buffer
      - .actual_access:  read_only
        .address_space:  global
        .offset:         56
        .size:           8
        .value_kind:     global_buffer
      - .actual_access:  read_only
        .address_space:  global
        .offset:         64
        .size:           8
        .value_kind:     global_buffer
      - .actual_access:  read_only
        .address_space:  global
        .offset:         72
        .size:           8
        .value_kind:     global_buffer
      - .actual_access:  read_only
        .address_space:  global
        .offset:         80
        .size:           8
        .value_kind:     global_buffer
      - .actual_access:  read_only
        .address_space:  global
        .offset:         88
        .size:           8
        .value_kind:     global_buffer
      - .address_space:  global
        .offset:         96
        .size:           8
        .value_kind:     global_buffer
      - .address_space:  global
        .offset:         104
        .size:           8
        .value_kind:     global_buffer
      - .address_space:  global
        .offset:         112
        .size:           8
        .value_kind:     global_buffer
    .group_segment_fixed_size: 0
    .kernarg_segment_align: 8
    .kernarg_segment_size: 120
    .language:       OpenCL C
    .language_version:
      - 2
      - 0
    .max_flat_workgroup_size: 1024
    .name:           _ZN9rocsparseL20kernel_calculate_cooILi1024ELi32ELb0E21rocsparse_complex_numIdEiiEEvT4_T3_PKS3_S6_PKT2_21rocsparse_index_base_PKS4_SC_S6_SC_SC_S6_SC_PS7_PNS_15floating_traitsIS7_E6data_tEPKSG_
    .private_segment_fixed_size: 0
    .sgpr_count:     31
    .sgpr_spill_count: 0
    .symbol:         _ZN9rocsparseL20kernel_calculate_cooILi1024ELi32ELb0E21rocsparse_complex_numIdEiiEEvT4_T3_PKS3_S6_PKT2_21rocsparse_index_base_PKS4_SC_S6_SC_SC_S6_SC_PS7_PNS_15floating_traitsIS7_E6data_tEPKSG_.kd
    .uniform_work_group_size: 1
    .uses_dynamic_stack: false
    .vgpr_count:     34
    .vgpr_spill_count: 0
    .wavefront_size: 32
    .workgroup_processor_mode: 1
  - .args:
      - .offset:         0
        .size:           4
        .value_kind:     by_value
      - .offset:         4
        .size:           4
        .value_kind:     by_value
      - .actual_access:  read_only
        .address_space:  global
        .offset:         8
        .size:           8
        .value_kind:     global_buffer
      - .actual_access:  read_only
        .address_space:  global
        .offset:         16
        .size:           8
        .value_kind:     global_buffer
      - .actual_access:  read_only
        .address_space:  global
        .offset:         24
        .size:           8
        .value_kind:     global_buffer
      - .offset:         32
        .size:           4
        .value_kind:     by_value
      - .actual_access:  read_only
        .address_space:  global
        .offset:         40
        .size:           8
        .value_kind:     global_buffer
      - .actual_access:  read_only
        .address_space:  global
        .offset:         48
        .size:           8
        .value_kind:     global_buffer
      - .actual_access:  read_only
        .address_space:  global
        .offset:         56
        .size:           8
        .value_kind:     global_buffer
      - .actual_access:  read_only
        .address_space:  global
        .offset:         64
        .size:           8
        .value_kind:     global_buffer
      - .actual_access:  read_only
        .address_space:  global
        .offset:         72
        .size:           8
        .value_kind:     global_buffer
      - .actual_access:  read_only
        .address_space:  global
        .offset:         80
        .size:           8
        .value_kind:     global_buffer
      - .actual_access:  read_only
        .address_space:  global
        .offset:         88
        .size:           8
        .value_kind:     global_buffer
      - .address_space:  global
        .offset:         96
        .size:           8
        .value_kind:     global_buffer
      - .address_space:  global
        .offset:         104
        .size:           8
        .value_kind:     global_buffer
      - .address_space:  global
        .offset:         112
        .size:           8
        .value_kind:     global_buffer
    .group_segment_fixed_size: 0
    .kernarg_segment_align: 8
    .kernarg_segment_size: 120
    .language:       OpenCL C
    .language_version:
      - 2
      - 0
    .max_flat_workgroup_size: 1024
    .name:           _ZN9rocsparseL20kernel_calculate_cooILi1024ELi64ELb0E21rocsparse_complex_numIdEiiEEvT4_T3_PKS3_S6_PKT2_21rocsparse_index_base_PKS4_SC_S6_SC_SC_S6_SC_PS7_PNS_15floating_traitsIS7_E6data_tEPKSG_
    .private_segment_fixed_size: 0
    .sgpr_count:     31
    .sgpr_spill_count: 0
    .symbol:         _ZN9rocsparseL20kernel_calculate_cooILi1024ELi64ELb0E21rocsparse_complex_numIdEiiEEvT4_T3_PKS3_S6_PKT2_21rocsparse_index_base_PKS4_SC_S6_SC_SC_S6_SC_PS7_PNS_15floating_traitsIS7_E6data_tEPKSG_.kd
    .uniform_work_group_size: 1
    .uses_dynamic_stack: false
    .vgpr_count:     34
    .vgpr_spill_count: 0
    .wavefront_size: 32
    .workgroup_processor_mode: 1
  - .args:
      - .offset:         0
        .size:           4
        .value_kind:     by_value
      - .actual_access:  read_only
        .address_space:  global
        .offset:         8
        .size:           8
        .value_kind:     global_buffer
      - .actual_access:  read_only
        .address_space:  global
        .offset:         16
        .size:           8
        .value_kind:     global_buffer
      - .actual_access:  read_only
        .address_space:  global
        .offset:         24
        .size:           8
        .value_kind:     global_buffer
      - .offset:         32
        .size:           4
        .value_kind:     by_value
      - .address_space:  global
        .offset:         40
        .size:           8
        .value_kind:     global_buffer
      - .address_space:  global
        .offset:         48
        .size:           8
        .value_kind:     global_buffer
      - .offset:         56
        .size:           4
        .value_kind:     hidden_block_count_x
      - .offset:         60
        .size:           4
        .value_kind:     hidden_block_count_y
      - .offset:         64
        .size:           4
        .value_kind:     hidden_block_count_z
      - .offset:         68
        .size:           2
        .value_kind:     hidden_group_size_x
      - .offset:         70
        .size:           2
        .value_kind:     hidden_group_size_y
      - .offset:         72
        .size:           2
        .value_kind:     hidden_group_size_z
      - .offset:         74
        .size:           2
        .value_kind:     hidden_remainder_x
      - .offset:         76
        .size:           2
        .value_kind:     hidden_remainder_y
      - .offset:         78
        .size:           2
        .value_kind:     hidden_remainder_z
      - .offset:         96
        .size:           8
        .value_kind:     hidden_global_offset_x
      - .offset:         104
        .size:           8
        .value_kind:     hidden_global_offset_y
      - .offset:         112
        .size:           8
        .value_kind:     hidden_global_offset_z
      - .offset:         120
        .size:           2
        .value_kind:     hidden_grid_dims
    .group_segment_fixed_size: 4096
    .kernarg_segment_align: 8
    .kernarg_segment_size: 312
    .language:       OpenCL C
    .language_version:
      - 2
      - 0
    .max_flat_workgroup_size: 1024
    .name:           _ZN9rocsparseL19kernel_compute_unnzILj1024ELj32EiiEEvT2_PKT1_S4_PKS1_21rocsparse_index_base_PS2_S8_
    .private_segment_fixed_size: 0
    .sgpr_count:     18
    .sgpr_spill_count: 0
    .symbol:         _ZN9rocsparseL19kernel_compute_unnzILj1024ELj32EiiEEvT2_PKT1_S4_PKS1_21rocsparse_index_base_PS2_S8_.kd
    .uniform_work_group_size: 1
    .uses_dynamic_stack: false
    .vgpr_count:     10
    .vgpr_spill_count: 0
    .wavefront_size: 32
    .workgroup_processor_mode: 1
  - .args:
      - .offset:         0
        .size:           4
        .value_kind:     by_value
      - .actual_access:  read_only
        .address_space:  global
        .offset:         8
        .size:           8
        .value_kind:     global_buffer
      - .actual_access:  read_only
        .address_space:  global
        .offset:         16
        .size:           8
        .value_kind:     global_buffer
      - .actual_access:  read_only
        .address_space:  global
        .offset:         24
        .size:           8
        .value_kind:     global_buffer
      - .offset:         32
        .size:           4
        .value_kind:     by_value
      - .address_space:  global
        .offset:         40
        .size:           8
        .value_kind:     global_buffer
      - .address_space:  global
        .offset:         48
        .size:           8
        .value_kind:     global_buffer
      - .offset:         56
        .size:           4
        .value_kind:     hidden_block_count_x
      - .offset:         60
        .size:           4
        .value_kind:     hidden_block_count_y
      - .offset:         64
        .size:           4
        .value_kind:     hidden_block_count_z
      - .offset:         68
        .size:           2
        .value_kind:     hidden_group_size_x
      - .offset:         70
        .size:           2
        .value_kind:     hidden_group_size_y
      - .offset:         72
        .size:           2
        .value_kind:     hidden_group_size_z
      - .offset:         74
        .size:           2
        .value_kind:     hidden_remainder_x
      - .offset:         76
        .size:           2
        .value_kind:     hidden_remainder_y
      - .offset:         78
        .size:           2
        .value_kind:     hidden_remainder_z
      - .offset:         96
        .size:           8
        .value_kind:     hidden_global_offset_x
      - .offset:         104
        .size:           8
        .value_kind:     hidden_global_offset_y
      - .offset:         112
        .size:           8
        .value_kind:     hidden_global_offset_z
      - .offset:         120
        .size:           2
        .value_kind:     hidden_grid_dims
    .group_segment_fixed_size: 4096
    .kernarg_segment_align: 8
    .kernarg_segment_size: 312
    .language:       OpenCL C
    .language_version:
      - 2
      - 0
    .max_flat_workgroup_size: 1024
    .name:           _ZN9rocsparseL19kernel_compute_unnzILj1024ELj64EiiEEvT2_PKT1_S4_PKS1_21rocsparse_index_base_PS2_S8_
    .private_segment_fixed_size: 0
    .sgpr_count:     18
    .sgpr_spill_count: 0
    .symbol:         _ZN9rocsparseL19kernel_compute_unnzILj1024ELj64EiiEEvT2_PKT1_S4_PKS1_21rocsparse_index_base_PS2_S8_.kd
    .uniform_work_group_size: 1
    .uses_dynamic_stack: false
    .vgpr_count:     10
    .vgpr_spill_count: 0
    .wavefront_size: 32
    .workgroup_processor_mode: 1
  - .args:
      - .offset:         0
        .size:           4
        .value_kind:     by_value
      - .actual_access:  read_only
        .address_space:  global
        .offset:         8
        .size:           8
        .value_kind:     global_buffer
      - .actual_access:  read_only
        .address_space:  global
        .offset:         16
        .size:           8
        .value_kind:     global_buffer
      - .actual_access:  read_only
        .address_space:  global
        .offset:         24
        .size:           8
        .value_kind:     global_buffer
      - .offset:         32
        .size:           4
        .value_kind:     by_value
      - .actual_access:  write_only
        .address_space:  global
        .offset:         40
        .size:           8
        .value_kind:     global_buffer
      - .offset:         48
        .size:           4
        .value_kind:     hidden_block_count_x
      - .offset:         52
        .size:           4
        .value_kind:     hidden_block_count_y
      - .offset:         56
        .size:           4
        .value_kind:     hidden_block_count_z
      - .offset:         60
        .size:           2
        .value_kind:     hidden_group_size_x
      - .offset:         62
        .size:           2
        .value_kind:     hidden_group_size_y
      - .offset:         64
        .size:           2
        .value_kind:     hidden_group_size_z
      - .offset:         66
        .size:           2
        .value_kind:     hidden_remainder_x
      - .offset:         68
        .size:           2
        .value_kind:     hidden_remainder_y
      - .offset:         70
        .size:           2
        .value_kind:     hidden_remainder_z
      - .offset:         88
        .size:           8
        .value_kind:     hidden_global_offset_x
      - .offset:         96
        .size:           8
        .value_kind:     hidden_global_offset_y
      - .offset:         104
        .size:           8
        .value_kind:     hidden_global_offset_z
      - .offset:         112
        .size:           2
        .value_kind:     hidden_grid_dims
    .group_segment_fixed_size: 0
    .kernarg_segment_align: 8
    .kernarg_segment_size: 304
    .language:       OpenCL C
    .language_version:
      - 2
      - 0
    .max_flat_workgroup_size: 1024
    .name:           _ZN9rocsparseL23kernel_compute_lptr_endILj1024ELj32EiiEEvT2_PKT1_S4_PKS1_21rocsparse_index_base_PS2_
    .private_segment_fixed_size: 0
    .sgpr_count:     18
    .sgpr_spill_count: 0
    .symbol:         _ZN9rocsparseL23kernel_compute_lptr_endILj1024ELj32EiiEEvT2_PKT1_S4_PKS1_21rocsparse_index_base_PS2_.kd
    .uniform_work_group_size: 1
    .uses_dynamic_stack: false
    .vgpr_count:     9
    .vgpr_spill_count: 0
    .wavefront_size: 32
    .workgroup_processor_mode: 1
  - .args:
      - .offset:         0
        .size:           4
        .value_kind:     by_value
      - .actual_access:  read_only
        .address_space:  global
        .offset:         8
        .size:           8
        .value_kind:     global_buffer
      - .actual_access:  read_only
        .address_space:  global
        .offset:         16
        .size:           8
        .value_kind:     global_buffer
      - .actual_access:  read_only
        .address_space:  global
        .offset:         24
        .size:           8
        .value_kind:     global_buffer
      - .offset:         32
        .size:           4
        .value_kind:     by_value
      - .actual_access:  write_only
        .address_space:  global
        .offset:         40
        .size:           8
        .value_kind:     global_buffer
      - .offset:         48
        .size:           4
        .value_kind:     hidden_block_count_x
      - .offset:         52
        .size:           4
        .value_kind:     hidden_block_count_y
      - .offset:         56
        .size:           4
        .value_kind:     hidden_block_count_z
      - .offset:         60
        .size:           2
        .value_kind:     hidden_group_size_x
      - .offset:         62
        .size:           2
        .value_kind:     hidden_group_size_y
      - .offset:         64
        .size:           2
        .value_kind:     hidden_group_size_z
      - .offset:         66
        .size:           2
        .value_kind:     hidden_remainder_x
      - .offset:         68
        .size:           2
        .value_kind:     hidden_remainder_y
      - .offset:         70
        .size:           2
        .value_kind:     hidden_remainder_z
      - .offset:         88
        .size:           8
        .value_kind:     hidden_global_offset_x
      - .offset:         96
        .size:           8
        .value_kind:     hidden_global_offset_y
      - .offset:         104
        .size:           8
        .value_kind:     hidden_global_offset_z
      - .offset:         112
        .size:           2
        .value_kind:     hidden_grid_dims
    .group_segment_fixed_size: 0
    .kernarg_segment_align: 8
    .kernarg_segment_size: 304
    .language:       OpenCL C
    .language_version:
      - 2
      - 0
    .max_flat_workgroup_size: 1024
    .name:           _ZN9rocsparseL23kernel_compute_lptr_endILj1024ELj64EiiEEvT2_PKT1_S4_PKS1_21rocsparse_index_base_PS2_
    .private_segment_fixed_size: 0
    .sgpr_count:     18
    .sgpr_spill_count: 0
    .symbol:         _ZN9rocsparseL23kernel_compute_lptr_endILj1024ELj64EiiEEvT2_PKT1_S4_PKS1_21rocsparse_index_base_PS2_.kd
    .uniform_work_group_size: 1
    .uses_dynamic_stack: false
    .vgpr_count:     9
    .vgpr_spill_count: 0
    .wavefront_size: 32
    .workgroup_processor_mode: 1
  - .args:
      - .offset:         0
        .size:           4
        .value_kind:     by_value
      - .actual_access:  read_only
        .address_space:  global
        .offset:         8
        .size:           8
        .value_kind:     global_buffer
      - .actual_access:  read_only
        .address_space:  global
        .offset:         16
        .size:           8
        .value_kind:     global_buffer
      - .actual_access:  write_only
        .address_space:  global
        .offset:         24
        .size:           8
        .value_kind:     global_buffer
      - .offset:         32
        .size:           4
        .value_kind:     by_value
      - .offset:         40
        .size:           4
        .value_kind:     hidden_block_count_x
      - .offset:         44
        .size:           4
        .value_kind:     hidden_block_count_y
      - .offset:         48
        .size:           4
        .value_kind:     hidden_block_count_z
      - .offset:         52
        .size:           2
        .value_kind:     hidden_group_size_x
      - .offset:         54
        .size:           2
        .value_kind:     hidden_group_size_y
      - .offset:         56
        .size:           2
        .value_kind:     hidden_group_size_z
      - .offset:         58
        .size:           2
        .value_kind:     hidden_remainder_x
      - .offset:         60
        .size:           2
        .value_kind:     hidden_remainder_y
      - .offset:         62
        .size:           2
        .value_kind:     hidden_remainder_z
      - .offset:         80
        .size:           8
        .value_kind:     hidden_global_offset_x
      - .offset:         88
        .size:           8
        .value_kind:     hidden_global_offset_y
      - .offset:         96
        .size:           8
        .value_kind:     hidden_global_offset_z
      - .offset:         104
        .size:           2
        .value_kind:     hidden_grid_dims
    .group_segment_fixed_size: 0
    .kernarg_segment_align: 8
    .kernarg_segment_size: 296
    .language:       OpenCL C
    .language_version:
      - 2
      - 0
    .max_flat_workgroup_size: 1024
    .name:           _ZN9rocsparseL26kernel_initialize_ucsr_ptrILj1024ELj32EiiEEvT2_PKT1_S4_PS2_21rocsparse_index_base_
    .private_segment_fixed_size: 0
    .sgpr_count:     18
    .sgpr_spill_count: 0
    .symbol:         _ZN9rocsparseL26kernel_initialize_ucsr_ptrILj1024ELj32EiiEEvT2_PKT1_S4_PS2_21rocsparse_index_base_.kd
    .uniform_work_group_size: 1
    .uses_dynamic_stack: false
    .vgpr_count:     6
    .vgpr_spill_count: 0
    .wavefront_size: 32
    .workgroup_processor_mode: 1
  - .args:
      - .offset:         0
        .size:           4
        .value_kind:     by_value
      - .actual_access:  read_only
        .address_space:  global
        .offset:         8
        .size:           8
        .value_kind:     global_buffer
      - .actual_access:  read_only
        .address_space:  global
        .offset:         16
        .size:           8
        .value_kind:     global_buffer
      - .actual_access:  write_only
        .address_space:  global
        .offset:         24
        .size:           8
        .value_kind:     global_buffer
      - .offset:         32
        .size:           4
        .value_kind:     by_value
      - .offset:         40
        .size:           4
        .value_kind:     hidden_block_count_x
      - .offset:         44
        .size:           4
        .value_kind:     hidden_block_count_y
      - .offset:         48
        .size:           4
        .value_kind:     hidden_block_count_z
      - .offset:         52
        .size:           2
        .value_kind:     hidden_group_size_x
      - .offset:         54
        .size:           2
        .value_kind:     hidden_group_size_y
      - .offset:         56
        .size:           2
        .value_kind:     hidden_group_size_z
      - .offset:         58
        .size:           2
        .value_kind:     hidden_remainder_x
      - .offset:         60
        .size:           2
        .value_kind:     hidden_remainder_y
      - .offset:         62
        .size:           2
        .value_kind:     hidden_remainder_z
      - .offset:         80
        .size:           8
        .value_kind:     hidden_global_offset_x
      - .offset:         88
        .size:           8
        .value_kind:     hidden_global_offset_y
      - .offset:         96
        .size:           8
        .value_kind:     hidden_global_offset_z
      - .offset:         104
        .size:           2
        .value_kind:     hidden_grid_dims
    .group_segment_fixed_size: 0
    .kernarg_segment_align: 8
    .kernarg_segment_size: 296
    .language:       OpenCL C
    .language_version:
      - 2
      - 0
    .max_flat_workgroup_size: 1024
    .name:           _ZN9rocsparseL26kernel_initialize_ucsr_ptrILj1024ELj64EiiEEvT2_PKT1_S4_PS2_21rocsparse_index_base_
    .private_segment_fixed_size: 0
    .sgpr_count:     18
    .sgpr_spill_count: 0
    .symbol:         _ZN9rocsparseL26kernel_initialize_ucsr_ptrILj1024ELj64EiiEEvT2_PKT1_S4_PS2_21rocsparse_index_base_.kd
    .uniform_work_group_size: 1
    .uses_dynamic_stack: false
    .vgpr_count:     6
    .vgpr_spill_count: 0
    .wavefront_size: 32
    .workgroup_processor_mode: 1
  - .args:
      - .offset:         0
        .size:           4
        .value_kind:     by_value
      - .actual_access:  read_only
        .address_space:  global
        .offset:         8
        .size:           8
        .value_kind:     global_buffer
      - .actual_access:  read_only
        .address_space:  global
        .offset:         16
        .size:           8
        .value_kind:     global_buffer
      - .actual_access:  read_only
        .address_space:  global
        .offset:         24
        .size:           8
        .value_kind:     global_buffer
      - .offset:         32
        .size:           4
        .value_kind:     by_value
      - .actual_access:  read_only
        .address_space:  global
        .offset:         40
        .size:           8
        .value_kind:     global_buffer
      - .actual_access:  write_only
        .address_space:  global
        .offset:         48
        .size:           8
        .value_kind:     global_buffer
      - .actual_access:  write_only
        .address_space:  global
        .offset:         56
        .size:           8
        .value_kind:     global_buffer
      - .actual_access:  write_only
        .address_space:  global
        .offset:         64
        .size:           8
        .value_kind:     global_buffer
      - .offset:         72
        .size:           4
        .value_kind:     hidden_block_count_x
      - .offset:         76
        .size:           4
        .value_kind:     hidden_block_count_y
      - .offset:         80
        .size:           4
        .value_kind:     hidden_block_count_z
      - .offset:         84
        .size:           2
        .value_kind:     hidden_group_size_x
      - .offset:         86
        .size:           2
        .value_kind:     hidden_group_size_y
      - .offset:         88
        .size:           2
        .value_kind:     hidden_group_size_z
      - .offset:         90
        .size:           2
        .value_kind:     hidden_remainder_x
      - .offset:         92
        .size:           2
        .value_kind:     hidden_remainder_y
      - .offset:         94
        .size:           2
        .value_kind:     hidden_remainder_z
      - .offset:         112
        .size:           8
        .value_kind:     hidden_global_offset_x
      - .offset:         120
        .size:           8
        .value_kind:     hidden_global_offset_y
      - .offset:         128
        .size:           8
        .value_kind:     hidden_global_offset_z
      - .offset:         136
        .size:           2
        .value_kind:     hidden_grid_dims
    .group_segment_fixed_size: 0
    .kernarg_segment_align: 8
    .kernarg_segment_size: 328
    .language:       OpenCL C
    .language_version:
      - 2
      - 0
    .max_flat_workgroup_size: 1024
    .name:           _ZN9rocsparseL18kernel_compute_cooILj1024ELj32EiiEEvT2_PKT1_S4_PKS1_21rocsparse_index_base_S4_PS1_S8_PS2_
    .private_segment_fixed_size: 0
    .sgpr_count:     18
    .sgpr_spill_count: 0
    .symbol:         _ZN9rocsparseL18kernel_compute_cooILj1024ELj32EiiEEvT2_PKT1_S4_PKS1_21rocsparse_index_base_S4_PS1_S8_PS2_.kd
    .uniform_work_group_size: 1
    .uses_dynamic_stack: false
    .vgpr_count:     12
    .vgpr_spill_count: 0
    .wavefront_size: 32
    .workgroup_processor_mode: 1
  - .args:
      - .offset:         0
        .size:           4
        .value_kind:     by_value
      - .actual_access:  read_only
        .address_space:  global
        .offset:         8
        .size:           8
        .value_kind:     global_buffer
      - .actual_access:  read_only
        .address_space:  global
        .offset:         16
        .size:           8
        .value_kind:     global_buffer
      - .actual_access:  read_only
        .address_space:  global
        .offset:         24
        .size:           8
        .value_kind:     global_buffer
      - .offset:         32
        .size:           4
        .value_kind:     by_value
      - .actual_access:  read_only
        .address_space:  global
        .offset:         40
        .size:           8
        .value_kind:     global_buffer
      - .actual_access:  write_only
        .address_space:  global
        .offset:         48
        .size:           8
        .value_kind:     global_buffer
      - .actual_access:  write_only
        .address_space:  global
        .offset:         56
        .size:           8
        .value_kind:     global_buffer
      - .actual_access:  write_only
        .address_space:  global
        .offset:         64
        .size:           8
        .value_kind:     global_buffer
      - .offset:         72
        .size:           4
        .value_kind:     hidden_block_count_x
      - .offset:         76
        .size:           4
        .value_kind:     hidden_block_count_y
      - .offset:         80
        .size:           4
        .value_kind:     hidden_block_count_z
      - .offset:         84
        .size:           2
        .value_kind:     hidden_group_size_x
      - .offset:         86
        .size:           2
        .value_kind:     hidden_group_size_y
      - .offset:         88
        .size:           2
        .value_kind:     hidden_group_size_z
      - .offset:         90
        .size:           2
        .value_kind:     hidden_remainder_x
      - .offset:         92
        .size:           2
        .value_kind:     hidden_remainder_y
      - .offset:         94
        .size:           2
        .value_kind:     hidden_remainder_z
      - .offset:         112
        .size:           8
        .value_kind:     hidden_global_offset_x
      - .offset:         120
        .size:           8
        .value_kind:     hidden_global_offset_y
      - .offset:         128
        .size:           8
        .value_kind:     hidden_global_offset_z
      - .offset:         136
        .size:           2
        .value_kind:     hidden_grid_dims
    .group_segment_fixed_size: 0
    .kernarg_segment_align: 8
    .kernarg_segment_size: 328
    .language:       OpenCL C
    .language_version:
      - 2
      - 0
    .max_flat_workgroup_size: 1024
    .name:           _ZN9rocsparseL18kernel_compute_cooILj1024ELj64EiiEEvT2_PKT1_S4_PKS1_21rocsparse_index_base_S4_PS1_S8_PS2_
    .private_segment_fixed_size: 0
    .sgpr_count:     18
    .sgpr_spill_count: 0
    .symbol:         _ZN9rocsparseL18kernel_compute_cooILj1024ELj64EiiEEvT2_PKT1_S4_PKS1_21rocsparse_index_base_S4_PS1_S8_PS2_.kd
    .uniform_work_group_size: 1
    .uses_dynamic_stack: false
    .vgpr_count:     12
    .vgpr_spill_count: 0
    .wavefront_size: 32
    .workgroup_processor_mode: 1
amdhsa.target:   amdgcn-amd-amdhsa--gfx1100
amdhsa.version:
  - 1
  - 2
...

	.end_amdgpu_metadata
